;; amdgpu-corpus repo=ROCm/rocFFT kind=compiled arch=gfx906 opt=O3
	.text
	.amdgcn_target "amdgcn-amd-amdhsa--gfx906"
	.amdhsa_code_object_version 6
	.protected	fft_rtc_fwd_len2040_factors_17_4_3_10_wgs_170_tpt_170_halfLds_half_ip_CI_unitstride_sbrr_dirReg ; -- Begin function fft_rtc_fwd_len2040_factors_17_4_3_10_wgs_170_tpt_170_halfLds_half_ip_CI_unitstride_sbrr_dirReg
	.globl	fft_rtc_fwd_len2040_factors_17_4_3_10_wgs_170_tpt_170_halfLds_half_ip_CI_unitstride_sbrr_dirReg
	.p2align	8
	.type	fft_rtc_fwd_len2040_factors_17_4_3_10_wgs_170_tpt_170_halfLds_half_ip_CI_unitstride_sbrr_dirReg,@function
fft_rtc_fwd_len2040_factors_17_4_3_10_wgs_170_tpt_170_halfLds_half_ip_CI_unitstride_sbrr_dirReg: ; @fft_rtc_fwd_len2040_factors_17_4_3_10_wgs_170_tpt_170_halfLds_half_ip_CI_unitstride_sbrr_dirReg
; %bb.0:
	s_load_dwordx2 s[12:13], s[4:5], 0x50
	s_load_dwordx4 s[8:11], s[4:5], 0x0
	s_load_dwordx2 s[2:3], s[4:5], 0x18
	v_mul_u32_u24_e32 v1, 0x182, v0
	v_add_u32_sdwa v5, s6, v1 dst_sel:DWORD dst_unused:UNUSED_PAD src0_sel:DWORD src1_sel:WORD_1
	v_mov_b32_e32 v3, 0
	s_waitcnt lgkmcnt(0)
	v_cmp_lt_u64_e64 s[0:1], s[10:11], 2
	v_mov_b32_e32 v1, 0
	v_mov_b32_e32 v6, v3
	s_and_b64 vcc, exec, s[0:1]
	v_mov_b32_e32 v2, 0
	s_cbranch_vccnz .LBB0_8
; %bb.1:
	s_load_dwordx2 s[0:1], s[4:5], 0x10
	s_add_u32 s6, s2, 8
	s_addc_u32 s7, s3, 0
	v_mov_b32_e32 v1, 0
	v_mov_b32_e32 v2, 0
	s_waitcnt lgkmcnt(0)
	s_add_u32 s14, s0, 8
	s_addc_u32 s15, s1, 0
	s_mov_b64 s[16:17], 1
.LBB0_2:                                ; =>This Inner Loop Header: Depth=1
	s_load_dwordx2 s[18:19], s[14:15], 0x0
                                        ; implicit-def: $vgpr7_vgpr8
	s_waitcnt lgkmcnt(0)
	v_or_b32_e32 v4, s19, v6
	v_cmp_ne_u64_e32 vcc, 0, v[3:4]
	s_and_saveexec_b64 s[0:1], vcc
	s_xor_b64 s[20:21], exec, s[0:1]
	s_cbranch_execz .LBB0_4
; %bb.3:                                ;   in Loop: Header=BB0_2 Depth=1
	v_cvt_f32_u32_e32 v4, s18
	v_cvt_f32_u32_e32 v7, s19
	s_sub_u32 s0, 0, s18
	s_subb_u32 s1, 0, s19
	v_mac_f32_e32 v4, 0x4f800000, v7
	v_rcp_f32_e32 v4, v4
	v_mul_f32_e32 v4, 0x5f7ffffc, v4
	v_mul_f32_e32 v7, 0x2f800000, v4
	v_trunc_f32_e32 v7, v7
	v_mac_f32_e32 v4, 0xcf800000, v7
	v_cvt_u32_f32_e32 v7, v7
	v_cvt_u32_f32_e32 v4, v4
	v_mul_lo_u32 v8, s0, v7
	v_mul_hi_u32 v9, s0, v4
	v_mul_lo_u32 v11, s1, v4
	v_mul_lo_u32 v10, s0, v4
	v_add_u32_e32 v8, v9, v8
	v_add_u32_e32 v8, v8, v11
	v_mul_hi_u32 v9, v4, v10
	v_mul_lo_u32 v11, v4, v8
	v_mul_hi_u32 v13, v4, v8
	v_mul_hi_u32 v12, v7, v10
	v_mul_lo_u32 v10, v7, v10
	v_mul_hi_u32 v14, v7, v8
	v_add_co_u32_e32 v9, vcc, v9, v11
	v_addc_co_u32_e32 v11, vcc, 0, v13, vcc
	v_mul_lo_u32 v8, v7, v8
	v_add_co_u32_e32 v9, vcc, v9, v10
	v_addc_co_u32_e32 v9, vcc, v11, v12, vcc
	v_addc_co_u32_e32 v10, vcc, 0, v14, vcc
	v_add_co_u32_e32 v8, vcc, v9, v8
	v_addc_co_u32_e32 v9, vcc, 0, v10, vcc
	v_add_co_u32_e32 v4, vcc, v4, v8
	v_addc_co_u32_e32 v7, vcc, v7, v9, vcc
	v_mul_lo_u32 v8, s0, v7
	v_mul_hi_u32 v9, s0, v4
	v_mul_lo_u32 v10, s1, v4
	v_mul_lo_u32 v11, s0, v4
	v_add_u32_e32 v8, v9, v8
	v_add_u32_e32 v8, v8, v10
	v_mul_lo_u32 v12, v4, v8
	v_mul_hi_u32 v13, v4, v11
	v_mul_hi_u32 v14, v4, v8
	;; [unrolled: 1-line block ×3, first 2 shown]
	v_mul_lo_u32 v11, v7, v11
	v_mul_hi_u32 v9, v7, v8
	v_add_co_u32_e32 v12, vcc, v13, v12
	v_addc_co_u32_e32 v13, vcc, 0, v14, vcc
	v_mul_lo_u32 v8, v7, v8
	v_add_co_u32_e32 v11, vcc, v12, v11
	v_addc_co_u32_e32 v10, vcc, v13, v10, vcc
	v_addc_co_u32_e32 v9, vcc, 0, v9, vcc
	v_add_co_u32_e32 v8, vcc, v10, v8
	v_addc_co_u32_e32 v9, vcc, 0, v9, vcc
	v_add_co_u32_e32 v4, vcc, v4, v8
	v_addc_co_u32_e32 v9, vcc, v7, v9, vcc
	v_mad_u64_u32 v[7:8], s[0:1], v5, v9, 0
	v_mul_hi_u32 v10, v5, v4
	v_add_co_u32_e32 v11, vcc, v10, v7
	v_addc_co_u32_e32 v12, vcc, 0, v8, vcc
	v_mad_u64_u32 v[7:8], s[0:1], v6, v4, 0
	v_mad_u64_u32 v[9:10], s[0:1], v6, v9, 0
	v_add_co_u32_e32 v4, vcc, v11, v7
	v_addc_co_u32_e32 v4, vcc, v12, v8, vcc
	v_addc_co_u32_e32 v7, vcc, 0, v10, vcc
	v_add_co_u32_e32 v4, vcc, v4, v9
	v_addc_co_u32_e32 v9, vcc, 0, v7, vcc
	v_mul_lo_u32 v10, s19, v4
	v_mul_lo_u32 v11, s18, v9
	v_mad_u64_u32 v[7:8], s[0:1], s18, v4, 0
	v_add3_u32 v8, v8, v11, v10
	v_sub_u32_e32 v10, v6, v8
	v_mov_b32_e32 v11, s19
	v_sub_co_u32_e32 v7, vcc, v5, v7
	v_subb_co_u32_e64 v10, s[0:1], v10, v11, vcc
	v_subrev_co_u32_e64 v11, s[0:1], s18, v7
	v_subbrev_co_u32_e64 v10, s[0:1], 0, v10, s[0:1]
	v_cmp_le_u32_e64 s[0:1], s19, v10
	v_cndmask_b32_e64 v12, 0, -1, s[0:1]
	v_cmp_le_u32_e64 s[0:1], s18, v11
	v_cndmask_b32_e64 v11, 0, -1, s[0:1]
	v_cmp_eq_u32_e64 s[0:1], s19, v10
	v_cndmask_b32_e64 v10, v12, v11, s[0:1]
	v_add_co_u32_e64 v11, s[0:1], 2, v4
	v_addc_co_u32_e64 v12, s[0:1], 0, v9, s[0:1]
	v_add_co_u32_e64 v13, s[0:1], 1, v4
	v_addc_co_u32_e64 v14, s[0:1], 0, v9, s[0:1]
	v_subb_co_u32_e32 v8, vcc, v6, v8, vcc
	v_cmp_ne_u32_e64 s[0:1], 0, v10
	v_cmp_le_u32_e32 vcc, s19, v8
	v_cndmask_b32_e64 v10, v14, v12, s[0:1]
	v_cndmask_b32_e64 v12, 0, -1, vcc
	v_cmp_le_u32_e32 vcc, s18, v7
	v_cndmask_b32_e64 v7, 0, -1, vcc
	v_cmp_eq_u32_e32 vcc, s19, v8
	v_cndmask_b32_e32 v7, v12, v7, vcc
	v_cmp_ne_u32_e32 vcc, 0, v7
	v_cndmask_b32_e64 v7, v13, v11, s[0:1]
	v_cndmask_b32_e32 v8, v9, v10, vcc
	v_cndmask_b32_e32 v7, v4, v7, vcc
.LBB0_4:                                ;   in Loop: Header=BB0_2 Depth=1
	s_andn2_saveexec_b64 s[0:1], s[20:21]
	s_cbranch_execz .LBB0_6
; %bb.5:                                ;   in Loop: Header=BB0_2 Depth=1
	v_cvt_f32_u32_e32 v4, s18
	s_sub_i32 s20, 0, s18
	v_rcp_iflag_f32_e32 v4, v4
	v_mul_f32_e32 v4, 0x4f7ffffe, v4
	v_cvt_u32_f32_e32 v4, v4
	v_mul_lo_u32 v7, s20, v4
	v_mul_hi_u32 v7, v4, v7
	v_add_u32_e32 v4, v4, v7
	v_mul_hi_u32 v4, v5, v4
	v_mul_lo_u32 v7, v4, s18
	v_add_u32_e32 v8, 1, v4
	v_sub_u32_e32 v7, v5, v7
	v_subrev_u32_e32 v9, s18, v7
	v_cmp_le_u32_e32 vcc, s18, v7
	v_cndmask_b32_e32 v7, v7, v9, vcc
	v_cndmask_b32_e32 v4, v4, v8, vcc
	v_add_u32_e32 v8, 1, v4
	v_cmp_le_u32_e32 vcc, s18, v7
	v_cndmask_b32_e32 v7, v4, v8, vcc
	v_mov_b32_e32 v8, v3
.LBB0_6:                                ;   in Loop: Header=BB0_2 Depth=1
	s_or_b64 exec, exec, s[0:1]
	v_mul_lo_u32 v4, v8, s18
	v_mul_lo_u32 v11, v7, s19
	v_mad_u64_u32 v[9:10], s[0:1], v7, s18, 0
	s_load_dwordx2 s[0:1], s[6:7], 0x0
	s_add_u32 s16, s16, 1
	v_add3_u32 v4, v10, v11, v4
	v_sub_co_u32_e32 v5, vcc, v5, v9
	v_subb_co_u32_e32 v4, vcc, v6, v4, vcc
	s_waitcnt lgkmcnt(0)
	v_mul_lo_u32 v4, s0, v4
	v_mul_lo_u32 v6, s1, v5
	v_mad_u64_u32 v[1:2], s[0:1], s0, v5, v[1:2]
	s_addc_u32 s17, s17, 0
	s_add_u32 s6, s6, 8
	v_add3_u32 v2, v6, v2, v4
	v_mov_b32_e32 v4, s10
	v_mov_b32_e32 v5, s11
	s_addc_u32 s7, s7, 0
	v_cmp_ge_u64_e32 vcc, s[16:17], v[4:5]
	s_add_u32 s14, s14, 8
	s_addc_u32 s15, s15, 0
	s_cbranch_vccnz .LBB0_9
; %bb.7:                                ;   in Loop: Header=BB0_2 Depth=1
	v_mov_b32_e32 v5, v7
	v_mov_b32_e32 v6, v8
	s_branch .LBB0_2
.LBB0_8:
	v_mov_b32_e32 v8, v6
	v_mov_b32_e32 v7, v5
.LBB0_9:
	s_lshl_b64 s[0:1], s[10:11], 3
	s_add_u32 s0, s2, s0
	s_addc_u32 s1, s3, s1
	s_load_dwordx2 s[2:3], s[0:1], 0x0
	s_load_dwordx2 s[6:7], s[4:5], 0x20
	v_mov_b32_e32 v37, 0
                                        ; implicit-def: $vgpr10
                                        ; implicit-def: $vgpr6
                                        ; implicit-def: $vgpr11
                                        ; implicit-def: $vgpr12
                                        ; implicit-def: $vgpr9
                                        ; implicit-def: $vgpr14
                                        ; implicit-def: $vgpr25
                                        ; implicit-def: $vgpr17
                                        ; implicit-def: $vgpr26
                                        ; implicit-def: $vgpr20
                                        ; implicit-def: $vgpr27
                                        ; implicit-def: $vgpr22
                                        ; implicit-def: $vgpr28
                                        ; implicit-def: $vgpr15
                                        ; implicit-def: $vgpr29
                                        ; implicit-def: $vgpr34
                                        ; implicit-def: $vgpr16
                                        ; implicit-def: $vgpr30
                                        ; implicit-def: $vgpr18
                                        ; implicit-def: $vgpr31
                                        ; implicit-def: $vgpr13
                                        ; implicit-def: $vgpr38
                                        ; implicit-def: $vgpr19
                                        ; implicit-def: $vgpr36
                                        ; implicit-def: $vgpr21
                                        ; implicit-def: $vgpr35
                                        ; implicit-def: $vgpr23
                                        ; implicit-def: $vgpr33
                                        ; implicit-def: $vgpr24
                                        ; implicit-def: $vgpr32
	s_waitcnt lgkmcnt(0)
	v_mad_u64_u32 v[1:2], s[0:1], s2, v7, v[1:2]
	s_mov_b32 s0, 0x1818182
	v_mul_lo_u32 v3, s2, v8
	v_mul_lo_u32 v4, s3, v7
	v_mul_hi_u32 v5, v0, s0
	v_cmp_gt_u64_e32 vcc, s[6:7], v[7:8]
	s_movk_i32 s0, 0x78
	v_add3_u32 v2, v4, v2, v3
	v_mul_u32_u24_e32 v3, 0xaa, v5
	v_sub_u32_e32 v0, v0, v3
	v_cmp_gt_u32_e64 s[0:1], s0, v0
	v_lshlrev_b64 v[2:3], 2, v[1:2]
	s_and_b64 s[2:3], vcc, s[0:1]
	v_mov_b32_e32 v1, 0
                                        ; implicit-def: $vgpr7
	s_and_saveexec_b64 s[4:5], s[2:3]
	s_cbranch_execz .LBB0_11
; %bb.10:
	v_mov_b32_e32 v1, 0
	v_mov_b32_e32 v4, s13
	v_add_co_u32_e64 v8, s[2:3], s12, v2
	v_addc_co_u32_e64 v12, s[2:3], v4, v3, s[2:3]
	v_lshlrev_b64 v[4:5], 2, v[0:1]
	v_or_b32_e32 v10, 0x780, v0
	v_add_co_u32_e64 v4, s[2:3], v8, v4
	v_addc_co_u32_e64 v5, s[2:3], v12, v5, s[2:3]
	s_movk_i32 s2, 0x1000
	v_mov_b32_e32 v11, v1
	global_load_dword v37, v[4:5], off
	global_load_dword v6, v[4:5], off offset:480
	global_load_dword v7, v[4:5], off offset:960
	global_load_dword v9, v[4:5], off offset:1440
	global_load_dword v25, v[4:5], off offset:1920
	global_load_dword v26, v[4:5], off offset:2400
	global_load_dword v27, v[4:5], off offset:2880
	global_load_dword v28, v[4:5], off offset:3360
	global_load_dword v29, v[4:5], off offset:3840
	v_add_co_u32_e64 v4, s[2:3], s2, v4
	v_lshlrev_b64 v[10:11], 2, v[10:11]
	v_addc_co_u32_e64 v5, s[2:3], 0, v5, s[2:3]
	v_add_co_u32_e64 v10, s[2:3], v8, v10
	v_addc_co_u32_e64 v11, s[2:3], v12, v11, s[2:3]
	global_load_dword v30, v[4:5], off offset:704
	global_load_dword v31, v[4:5], off offset:1184
	global_load_dword v32, v[4:5], off offset:1664
	global_load_dword v33, v[4:5], off offset:2144
	global_load_dword v35, v[4:5], off offset:2624
	global_load_dword v36, v[4:5], off offset:3104
	global_load_dword v38, v[10:11], off
	global_load_dword v34, v[4:5], off offset:224
	s_mov_b32 s2, 0x7060302
	s_waitcnt vmcnt(15)
	v_lshrrev_b32_e32 v10, 16, v6
	s_waitcnt vmcnt(14)
	v_lshrrev_b32_e32 v11, 16, v7
	;; [unrolled: 2-line block ×15, first 2 shown]
	s_waitcnt vmcnt(0)
	v_perm_b32 v1, v37, v34, s2
.LBB0_11:
	s_or_b64 exec, exec, s[4:5]
	s_mov_b32 s4, 0x3b7639e9
	v_add_f16_e32 v39, v6, v38
	s_mov_b32 s24, 0xb5c8b964
	v_sub_f16_e32 v49, v10, v13
	v_pk_mul_f16 v54, v39, s4 op_sel_hi:[0,1]
	s_mov_b32 s5, 0x39e92de8
	v_add_f16_e32 v40, v7, v36
	v_pk_fma_f16 v4, v49, s24, v54 op_sel_hi:[0,1,1]
	s_mov_b32 s25, 0xb964bbf7
	v_sub_f16_e32 v51, v11, v19
	v_pk_mul_f16 v56, v40, s5 op_sel_hi:[0,1]
	s_mov_b32 s6, 0x3722b8d2
	v_add_f16_e32 v41, v9, v35
	v_pk_add_f16 v4, v37, v4 op_sel_hi:[0,1]
	v_pk_fma_f16 v5, v51, s25, v56 op_sel_hi:[0,1,1]
	s_mov_b32 s26, 0xbb29ba62
	v_sub_f16_e32 v52, v12, v21
	v_pk_mul_f16 v57, v41, s6 op_sel_hi:[0,1]
	s_mov_b32 s7, 0x2de8bbdd
	v_add_f16_e32 v42, v25, v33
	v_pk_add_f16 v4, v4, v5
	v_pk_fma_f16 v5, v52, s26, v57 op_sel_hi:[0,1,1]
	s_mov_b32 s27, 0xbbf7b1e1
	v_sub_f16_e32 v44, v14, v23
	v_pk_mul_f16 v60, v42, s7 op_sel_hi:[0,1]
	s_mov_b32 s10, 0xb461bacd
	v_add_f16_e32 v43, v26, v32
	v_pk_add_f16 v4, v4, v5
	;; [unrolled: 7-line block ×4, first 2 shown]
	v_pk_fma_f16 v5, v48, s29, v65 op_sel_hi:[0,1,1]
	s_mov_b32 s30, 0xb8363b29
	v_sub_f16_e32 v50, v22, v16
	v_pk_mul_f16 v67, v47, s14 op_sel_hi:[0,1]
	s_mov_b32 s15, 0x37222de8
	v_pk_add_f16 v4, v5, v4
	v_pk_fma_f16 v5, v50, s30, v67 op_sel_hi:[0,1,1]
	s_mov_b32 s31, 0xbb29bbf7
	v_pk_mul_f16 v68, v39, s15 op_sel_hi:[0,1]
	s_mov_b32 s16, 0xb8d2bbdd
	v_pk_add_f16 v4, v5, v4
	v_pk_fma_f16 v5, v49, s31, v68 op_sel_hi:[0,1,1]
	s_mov_b32 s33, 0xba62b1e1
	v_pk_mul_f16 v69, v40, s16 op_sel_hi:[0,1]
	s_mov_b32 s17, 0xbbddb461
	v_pk_add_f16 v5, v37, v5 op_sel_hi:[0,1]
	v_pk_fma_f16 v8, v51, s33, v69 op_sel_hi:[0,1,1]
	s_mov_b32 s34, 0x31e13bb2
	v_pk_mul_f16 v58, v41, s17 op_sel_hi:[0,1]
	s_mov_b32 s18, 0xb4613b76
	v_pk_add_f16 v5, v5, v8
	v_pk_fma_f16 v8, v52, s34, v58 op_sel_hi:[0,1,1]
	s_mov_b32 s35, 0x3bb235c8
	v_pk_mul_f16 v59, v42, s18 op_sel_hi:[0,1]
	s_mov_b32 s19, 0x39e93722
	v_pk_add_f16 v5, v5, v8
	v_pk_fma_f16 v8, v44, s35, v59 op_sel_hi:[0,1,1]
	s_mov_b32 s36, 0x3964bb29
	v_pk_mul_f16 v61, v43, s19 op_sel_hi:[0,1]
	s_mov_b32 s20, 0x3b76bacd
	v_pk_add_f16 v5, v5, v8
	v_pk_fma_f16 v8, v46, s36, v61 op_sel_hi:[0,1,1]
	s_mov_b32 s37, 0xb5c8b836
	v_pk_mul_f16 v62, v45, s20 op_sel_hi:[0,1]
	s_mov_b32 s22, 0x2de8b8d2
	v_pk_add_f16 v5, v5, v8
	v_pk_fma_f16 v8, v48, s37, v62 op_sel_hi:[0,1,1]
	s_mov_b32 s38, 0xbbf73a62
	v_pk_mul_f16 v53, v47, s22 op_sel_hi:[0,1]
	s_mov_b32 s21, 0xbbdd3b76
	v_add_f16_e32 v63, v29, v34
	v_pk_add_f16 v5, v8, v5
	v_pk_fma_f16 v8, v50, s38, v53 op_sel_hi:[0,1,1]
	s_mov_b32 s40, 0xb1e135c8
	v_sub_f16_e32 v66, v15, v1
	v_pk_mul_f16 v70, v63, s21 op_sel_hi:[0,1]
	s_mov_b32 s23, 0xbacd39e9
	v_pk_add_f16 v8, v8, v5
	v_pk_fma_f16 v5, v66, s40, v70 op_sel_hi:[0,1,1]
	s_mov_b32 s39, 0xb8363964
	v_pk_mul_f16 v55, v63, s23 op_sel_hi:[0,1]
	v_pk_add_f16 v5, v5, v4
	v_pk_fma_f16 v4, v66, s39, v55 op_sel_hi:[0,1,1]
	s_mov_b32 s2, 0xbbb2
	v_mul_f16_e32 v71, 0xb461, v39
	v_pk_add_f16 v4, v4, v8
	v_fma_f16 v8, v49, s2, v71
	s_movk_i32 s2, 0x3836
	v_mul_f16_e32 v72, 0xbacd, v40
	v_add_f16_e32 v8, v37, v8
	v_fma_f16 v73, v51, s2, v72
	v_add_f16_e32 v8, v8, v73
	s_movk_i32 s2, 0x3964
	v_mul_f16_e32 v73, 0x39e9, v41
	v_fma_f16 v74, v52, s2, v73
	v_add_f16_e32 v8, v8, v74
	s_mov_b32 s2, 0xbb29
	v_mul_f16_e32 v74, 0x3722, v42
	v_fma_f16 v75, v44, s2, v74
	v_add_f16_e32 v8, v8, v75
	s_mov_b32 s2, 0xb1e1
	v_mul_f16_e32 v75, 0xbbdd, v43
	v_fma_f16 v76, v46, s2, v75
	v_add_f16_e32 v8, v8, v76
	s_movk_i32 s2, 0x3bf7
	v_mul_f16_e32 v76, 0x2de8, v45
	v_fma_f16 v77, v48, s2, v76
	v_add_f16_e32 v8, v77, v8
	s_mov_b32 s2, 0xb5c8
	v_mul_f16_e32 v77, 0x3b76, v47
	v_fma_f16 v78, v50, s2, v77
	v_add_f16_e32 v8, v78, v8
	s_mov_b32 s2, 0xba62
	;; [unrolled: 4-line block ×3, first 2 shown]
	s_mov_b32 s45, 0xbacd
	s_movk_i32 s44, 0x39e9
	s_movk_i32 s43, 0x3722
	s_mov_b32 s47, 0xbbdd
	s_movk_i32 s42, 0x2de8
	s_movk_i32 s48, 0x3b76
	s_mov_b32 s46, 0xb8d2
	s_and_saveexec_b64 s[2:3], s[0:1]
	s_cbranch_execz .LBB0_13
; %bb.12:
	v_mul_f16_e32 v80, 0xb1e1, v49
	v_mul_f16_e32 v81, 0x35c8, v51
	v_fma_f16 v88, v39, s47, -v80
	v_mul_f16_e32 v82, 0xb836, v52
	v_add_f16_e32 v88, v37, v88
	v_fma_f16 v89, v40, s48, -v81
	v_mul_f16_e32 v83, 0x3964, v44
	v_add_f16_e32 v88, v88, v89
	;; [unrolled: 3-line block ×6, first 2 shown]
	v_fma_f16 v89, v47, s41, -v86
	v_pack_b32_f16 v79, v49, v49
	v_add_f16_e32 v88, v89, v88
	v_fma_f16 v89, v63, s42, -v87
	s_mov_b32 s41, 0xbacdb8d2
	s_mov_b32 s42, 0xb836ba62
	v_pack_b32_f16 v90, v39, v39
	v_add_f16_e32 v88, v89, v88
	v_pack_b32_f16 v89, v51, v51
	v_pk_mul_f16 v79, v79, s42
	s_mov_b32 s42, 0x3722b461
	s_mov_b32 s43, 0x3b293bb2
	v_pk_mul_f16 v91, v90, s41
	v_pack_b32_f16 v93, v40, v40
	v_pk_mul_f16 v89, v89, s43
	v_add_f16_e32 v92, v79, v91
	v_pk_mul_f16 v94, v93, s42
	v_add_f16_e32 v92, v37, v92
	v_add_f16_e32 v95, v89, v94
	;; [unrolled: 1-line block ×3, first 2 shown]
	s_mov_b32 s43, 0x2de83b76
	s_mov_b32 s44, 0xbbf7b5c8
	v_pack_b32_f16 v95, v52, v52
	v_pack_b32_f16 v96, v41, v41
	v_pk_mul_f16 v95, v95, s44
	v_pk_mul_f16 v97, v96, s43
	v_add_f16_e32 v98, v95, v97
	v_add_f16_e32 v92, v92, v98
	s_mov_b32 s44, 0xb8d2bacd
	s_mov_b32 s45, 0x3a62b836
	v_pack_b32_f16 v98, v44, v44
	v_pack_b32_f16 v99, v42, v42
	v_pk_mul_f16 v98, v98, s45
	v_pk_mul_f16 v100, v99, s44
	v_add_f16_e32 v101, v98, v100
	v_add_f16_e32 v92, v92, v101
	;; [unrolled: 8-line block ×6, first 2 shown]
	v_mul_f16_e32 v113, 0xbbb2, v49
	v_sub_f16_e32 v71, v71, v113
	v_mul_f16_e32 v113, 0x3836, v51
	v_sub_f16_e32 v72, v72, v113
	v_add_f16_e32 v71, v37, v71
	v_add_f16_e32 v71, v71, v72
	v_mul_f16_e32 v72, 0x3964, v52
	v_sub_f16_e32 v72, v73, v72
	v_add_f16_e32 v71, v71, v72
	v_mul_f16_e32 v72, 0xbb29, v44
	v_sub_f16_e32 v72, v74, v72
	v_add_f16_e32 v71, v71, v72
	v_mul_f16_e32 v72, 0xb1e1, v46
	v_sub_f16_e32 v72, v75, v72
	v_add_f16_e32 v71, v71, v72
	v_mul_f16_e32 v72, 0x3bf7, v48
	v_sub_f16_e32 v72, v76, v72
	v_add_f16_e32 v71, v72, v71
	v_mul_f16_e32 v72, 0xb5c8, v50
	v_sub_f16_e32 v72, v77, v72
	v_add_f16_e32 v71, v72, v71
	v_mul_f16_e32 v72, 0xba62, v66
	v_sub_f16_e32 v72, v78, v72
	v_add_f16_e32 v71, v72, v71
	v_pk_mul_f16 v72, v49, s24 op_sel_hi:[0,1]
	v_pk_add_f16 v54, v54, v72 neg_lo:[0,1] neg_hi:[0,1]
	v_pk_mul_f16 v72, v51, s25 op_sel_hi:[0,1]
	s_mov_b32 s49, 0x5040100
	v_pk_add_f16 v56, v56, v72 neg_lo:[0,1] neg_hi:[0,1]
	v_perm_b32 v72, v37, v37, s49
	v_pk_add_f16 v54, v72, v54
	v_pk_mul_f16 v49, v49, s31 op_sel_hi:[0,1]
	v_pk_add_f16 v54, v54, v56
	v_pk_mul_f16 v56, v52, s26 op_sel_hi:[0,1]
	v_pk_add_f16 v49, v68, v49 neg_lo:[0,1] neg_hi:[0,1]
	v_pk_mul_f16 v51, v51, s33 op_sel_hi:[0,1]
	v_pk_add_f16 v56, v57, v56 neg_lo:[0,1] neg_hi:[0,1]
	v_pk_add_f16 v51, v69, v51 neg_lo:[0,1] neg_hi:[0,1]
	v_pk_add_f16 v49, v72, v49
	v_pk_add_f16 v54, v54, v56
	v_pk_mul_f16 v56, v44, s27 op_sel_hi:[0,1]
	v_pk_add_f16 v49, v49, v51
	v_pk_mul_f16 v51, v52, s34 op_sel_hi:[0,1]
	v_add_f16_e32 v37, v37, v6
	v_pk_add_f16 v56, v60, v56 neg_lo:[0,1] neg_hi:[0,1]
	v_pk_add_f16 v51, v58, v51 neg_lo:[0,1] neg_hi:[0,1]
	v_pk_mul_f16 v44, v44, s35 op_sel_hi:[0,1]
	v_add_f16_e32 v37, v37, v7
	v_pk_add_f16 v54, v54, v56
	v_pk_mul_f16 v56, v46, s28 op_sel_hi:[0,1]
	v_pk_add_f16 v49, v49, v51
	v_pk_add_f16 v44, v59, v44 neg_lo:[0,1] neg_hi:[0,1]
	v_pk_mul_f16 v46, v46, s36 op_sel_hi:[0,1]
	v_add_f16_e32 v37, v37, v9
	v_pk_add_f16 v56, v64, v56 neg_lo:[0,1] neg_hi:[0,1]
	v_pk_add_f16 v44, v49, v44
	v_pk_add_f16 v46, v61, v46 neg_lo:[0,1] neg_hi:[0,1]
	v_add_f16_e32 v37, v37, v25
	v_pk_add_f16 v54, v54, v56
	v_pk_mul_f16 v56, v48, s29 op_sel_hi:[0,1]
	v_pk_add_f16 v44, v44, v46
	v_pk_mul_f16 v46, v48, s37 op_sel_hi:[0,1]
	v_add_f16_e32 v37, v37, v26
	v_pk_add_f16 v56, v65, v56 neg_lo:[0,1] neg_hi:[0,1]
	v_pk_add_f16 v46, v62, v46 neg_lo:[0,1] neg_hi:[0,1]
	v_pk_mul_f16 v48, v50, s38 op_sel_hi:[0,1]
	v_add_f16_e32 v37, v37, v27
	v_pk_add_f16 v54, v56, v54
	v_pk_mul_f16 v56, v50, s30 op_sel_hi:[0,1]
	v_pk_mul_f16 v49, v66, s39 op_sel_hi:[0,1]
	v_mul_f16_e32 v50, 0xbbdd, v39
	v_mul_f16_e32 v51, 0x3b76, v40
	v_add_f16_e32 v37, v37, v28
	v_pk_add_f16 v39, v46, v44
	v_pk_add_f16 v40, v53, v48 neg_lo:[0,1] neg_hi:[0,1]
	v_add_f16_e32 v37, v37, v29
	v_pk_add_f16 v39, v40, v39
	v_pk_add_f16 v40, v55, v49 neg_lo:[0,1] neg_hi:[0,1]
	v_add_f16_e32 v37, v37, v34
	v_pk_add_f16 v39, v40, v39
	v_pk_fma_f16 v40, v90, s41, v79 neg_lo:[0,0,1] neg_hi:[0,0,1]
	v_mul_f16_e32 v52, 0xbacd, v41
	v_add_f16_e32 v37, v37, v30
	v_pk_add_f16 v40, v72, v40
	v_pk_fma_f16 v41, v93, s42, v89 neg_lo:[0,0,1] neg_hi:[0,0,1]
	v_add_f16_e32 v37, v37, v31
	v_pk_add_f16 v40, v40, v41
	v_pk_fma_f16 v41, v96, s43, v95 neg_lo:[0,0,1] neg_hi:[0,0,1]
	;; [unrolled: 3-line block ×3, first 2 shown]
	v_pk_add_f16 v56, v67, v56 neg_lo:[0,1] neg_hi:[0,1]
	v_add_f16_e32 v37, v33, v37
	v_pk_add_f16 v40, v40, v41
	v_pk_fma_f16 v41, v102, s45, v101 neg_lo:[0,0,1] neg_hi:[0,0,1]
	v_pk_add_f16 v54, v56, v54
	v_pk_mul_f16 v56, v66, s40 op_sel_hi:[0,1]
	v_add_f16_e32 v37, v35, v37
	v_pk_add_f16 v40, v40, v41
	v_pk_fma_f16 v41, v105, s46, v104 neg_lo:[0,0,1] neg_hi:[0,0,1]
	v_pk_add_f16 v56, v70, v56 neg_lo:[0,1] neg_hi:[0,1]
	v_add_f16_e32 v37, v36, v37
	v_pk_add_f16 v40, v41, v40
	v_pk_fma_f16 v41, v108, s47, v107 neg_lo:[0,0,1] neg_hi:[0,0,1]
	v_pk_add_f16 v54, v56, v54
	v_add_f16_e32 v37, v38, v37
	v_pk_add_f16 v40, v41, v40
	v_pk_fma_f16 v41, v111, s48, v110 neg_lo:[0,0,1] neg_hi:[0,0,1]
	s_mov_b32 s41, 0xffff
	v_mul_f16_e32 v56, 0x39e9, v42
	v_mad_u32_u24 v44, v0, 34, 0
	v_pk_add_f16 v42, v41, v40
	v_bfi_b32 v40, s41, v54, v39
	v_pack_b32_f16 v41, v39, v71
	v_bfi_b32 v39, s41, v37, v54
	ds_write_b128 v44, v[39:42]
	v_bfi_b32 v37, s41, v80, v79
	v_bfi_b32 v39, s41, v50, v91
	v_pk_add_f16 v37, v37, v39
	v_bfi_b32 v39, s41, v81, v89
	v_bfi_b32 v40, s41, v51, v94
	v_pk_add_f16 v37, v72, v37
	v_pk_add_f16 v39, v39, v40
	;; [unrolled: 1-line block ×3, first 2 shown]
	v_bfi_b32 v39, s41, v82, v95
	v_bfi_b32 v40, s41, v52, v97
	v_pk_add_f16 v39, v39, v40
	v_pk_add_f16 v37, v37, v39
	v_bfi_b32 v39, s41, v83, v98
	v_bfi_b32 v40, s41, v56, v100
	v_mul_f16_e32 v43, 0xb8d2, v43
	v_pk_add_f16 v39, v39, v40
	v_pk_add_f16 v37, v37, v39
	v_bfi_b32 v39, s41, v84, v101
	v_bfi_b32 v40, s41, v43, v103
	v_mul_f16_e32 v45, 0x3722, v45
	;; [unrolled: 5-line block ×4, first 2 shown]
	v_pk_add_f16 v39, v39, v40
	v_pk_add_f16 v37, v39, v37
	v_bfi_b32 v39, s41, v87, v110
	v_bfi_b32 v40, s41, v57, v112
	v_pk_add_f16 v39, v39, v40
	v_pk_add_f16 v37, v39, v37
	v_alignbit_b32 v40, v92, v37, 16
	v_pack_b32_f16 v39, v88, v37
	ds_write_b64 v44, v[39:40] offset:16
	ds_write_b16 v44, v8 offset:24
	ds_write_b64 v44, v[4:5] offset:26
.LBB0_13:
	s_or_b64 exec, exec, s[2:3]
	v_sub_f16_e32 v77, v6, v38
	v_add_f16_e32 v56, v10, v13
	v_sub_f16_e32 v76, v7, v36
	v_pk_mul_f16 v54, v77, s24 op_sel_hi:[0,1]
	v_add_f16_e32 v57, v11, v19
	v_sub_f16_e32 v75, v9, v35
	v_pk_fma_f16 v6, v56, s4, v54 op_sel_hi:[0,1,1] neg_lo:[0,0,1] neg_hi:[0,0,1]
	v_pk_mul_f16 v60, v76, s25 op_sel_hi:[0,1]
	v_add_f16_e32 v58, v12, v21
	v_sub_f16_e32 v74, v25, v33
	v_pk_add_f16 v6, v1, v6 op_sel:[1,0]
	v_pk_fma_f16 v7, v57, s5, v60 op_sel_hi:[0,1,1] neg_lo:[0,0,1] neg_hi:[0,0,1]
	v_pk_mul_f16 v63, v75, s26 op_sel_hi:[0,1]
	v_add_f16_e32 v59, v14, v23
	v_sub_f16_e32 v73, v26, v32
	v_pk_add_f16 v6, v6, v7
	v_pk_fma_f16 v7, v58, s6, v63 op_sel_hi:[0,1,1] neg_lo:[0,0,1] neg_hi:[0,0,1]
	v_pk_mul_f16 v66, v74, s27 op_sel_hi:[0,1]
	v_add_f16_e32 v61, v17, v24
	v_sub_f16_e32 v72, v27, v31
	v_pk_add_f16 v6, v6, v7
	;; [unrolled: 5-line block ×4, first 2 shown]
	v_pk_fma_f16 v7, v62, s11, v68 op_sel_hi:[0,1,1] neg_lo:[0,0,1] neg_hi:[0,0,1]
	v_pk_mul_f16 v69, v71, s30 op_sel_hi:[0,1]
	v_add_f16_e32 v65, v15, v1
	v_pk_add_f16 v6, v7, v6
	v_pk_fma_f16 v7, v64, s14, v69 op_sel_hi:[0,1,1] neg_lo:[0,0,1] neg_hi:[0,0,1]
	v_pk_mul_f16 v55, v70, s40 op_sel_hi:[0,1]
	v_pk_add_f16 v6, v7, v6
	v_pk_fma_f16 v7, v65, s21, v55 op_sel_hi:[0,1,1] neg_lo:[0,0,1] neg_hi:[0,0,1]
	v_pk_mul_f16 v38, v77, s31 op_sel_hi:[0,1]
	;; [unrolled: 3-line block ×3, first 2 shown]
	v_pk_add_f16 v6, v1, v6 op_sel:[1,0]
	v_pk_fma_f16 v9, v57, s16, v39 op_sel_hi:[0,1,1] neg_lo:[0,0,1] neg_hi:[0,0,1]
	v_pk_mul_f16 v40, v75, s34 op_sel_hi:[0,1]
	v_pk_add_f16 v6, v6, v9
	v_pk_fma_f16 v9, v58, s17, v40 op_sel_hi:[0,1,1] neg_lo:[0,0,1] neg_hi:[0,0,1]
	v_pk_mul_f16 v41, v74, s35 op_sel_hi:[0,1]
	v_pk_add_f16 v6, v6, v9
	;; [unrolled: 3-line block ×5, first 2 shown]
	v_pk_fma_f16 v9, v64, s22, v44 op_sel_hi:[0,1,1] neg_lo:[0,0,1] neg_hi:[0,0,1]
	v_pk_mul_f16 v45, v70, s39 op_sel_hi:[0,1]
	s_mov_b32 s2, 0xba62bbb2
	v_pk_add_f16 v6, v9, v6
	v_pk_fma_f16 v9, v65, s23, v45 op_sel_hi:[0,1,1] neg_lo:[0,0,1] neg_hi:[0,0,1]
	v_pk_mul_f16 v46, v77, s2 op_sel_hi:[0,1]
	s_mov_b32 s2, 0x3bb23836
	v_pk_add_f16 v6, v9, v6
	v_pk_mul_f16 v47, v76, s2 op_sel_hi:[0,1]
	s_mov_b32 s2, 0xb5c83964
	v_pk_fma_f16 v9, v56, s11, v46 op_sel_hi:[0,1,1] neg_lo:[0,0,1] neg_hi:[0,0,1]
	v_pk_mul_f16 v48, v75, s2 op_sel_hi:[0,1]
	s_mov_b32 s2, 0xb836bb29
	v_pk_add_f16 v9, v1, v9 op_sel:[1,0]
	v_pk_fma_f16 v25, v57, s10, v47 op_sel_hi:[0,1,1] neg_lo:[0,0,1] neg_hi:[0,0,1]
	v_pk_mul_f16 v49, v74, s2 op_sel_hi:[0,1]
	s_mov_b32 s2, 0x3bf7b1e1
	v_pk_add_f16 v9, v9, v25
	v_pk_fma_f16 v25, v58, s4, v48 op_sel_hi:[0,1,1] neg_lo:[0,0,1] neg_hi:[0,0,1]
	v_pk_mul_f16 v50, v73, s2 op_sel_hi:[0,1]
	s_mov_b32 s2, 0xb9643bf7
	v_pk_add_f16 v9, v9, v25
	;; [unrolled: 4-line block ×3, first 2 shown]
	v_pk_fma_f16 v25, v61, s7, v50 op_sel_hi:[0,1,1] neg_lo:[0,0,1] neg_hi:[0,0,1]
	v_pk_mul_f16 v52, v71, s2 op_sel_hi:[0,1]
	v_pk_add_f16 v9, v9, v25
	v_pk_fma_f16 v25, v62, s5, v51 op_sel_hi:[0,1,1] neg_lo:[0,0,1] neg_hi:[0,0,1]
	v_pk_add_f16 v9, v25, v9
	v_pk_fma_f16 v25, v64, s21, v52 op_sel_hi:[0,1,1] neg_lo:[0,0,1] neg_hi:[0,0,1]
	v_pk_add_f16 v9, v25, v9
	v_lshl_add_u32 v25, v0, 1, 0
	s_waitcnt lgkmcnt(0)
	s_barrier
	ds_read_u16 v28, v25
	ds_read_u16 v27, v25 offset:340
	ds_read_u16 v31, v25 offset:1360
	;; [unrolled: 1-line block ×11, first 2 shown]
	s_mov_b32 s2, 0x3b29ba62
	v_pk_mul_f16 v53, v70, s2 op_sel_hi:[0,1]
	v_pk_fma_f16 v78, v65, s6, v53 op_sel_hi:[0,1,1] neg_lo:[0,0,1] neg_hi:[0,0,1]
	v_pk_add_f16 v9, v78, v9
	s_waitcnt lgkmcnt(0)
	s_barrier
	s_and_saveexec_b64 s[2:3], s[0:1]
	s_cbranch_execz .LBB0_15
; %bb.14:
	v_add_f16_sdwa v10, v1, v10 dst_sel:DWORD dst_unused:UNUSED_PAD src0_sel:WORD_1 src1_sel:DWORD
	v_add_f16_e32 v10, v10, v11
	v_add_f16_e32 v10, v10, v12
	v_add_f16_e32 v10, v10, v14
	v_add_f16_e32 v10, v10, v17
	s_mov_b32 s0, 0x7060302
	v_add_f16_e32 v10, v10, v20
	v_pk_mul_f16 v79, v56, s4 op_sel_hi:[0,1]
	v_perm_b32 v80, v1, v1, s0
	v_add_f16_e32 v10, v10, v22
	s_mov_b32 s0, 0xffff
	v_pk_mul_f16 v82, v57, s5 op_sel_hi:[0,1]
	v_bfi_b32 v10, s0, v10, v79
	v_bfi_b32 v15, s0, v15, v54
	v_pk_mul_f16 v84, v58, s6 op_sel_hi:[0,1]
	v_pk_add_f16 v11, v82, v60
	v_pk_add_f16 v10, v10, v15
	v_pk_mul_f16 v86, v59, s7 op_sel_hi:[0,1]
	v_pk_add_f16 v12, v84, v63
	v_pk_add_f16 v10, v10, v1
	v_bfi_b32 v11, s0, v16, v11
	v_pk_mul_f16 v88, v61, s10 op_sel_hi:[0,1]
	v_pk_add_f16 v14, v86, v66
	v_pk_add_f16 v10, v10, v11
	v_bfi_b32 v11, s0, v18, v12
	;; [unrolled: 4-line block ×4, first 2 shown]
	v_pk_add_f16 v22, v92, v69
	v_pk_add_f16 v10, v11, v10
	v_bfi_b32 v11, s0, v21, v20
	v_pk_mul_f16 v94, v65, s21 op_sel_hi:[0,1]
	v_pk_add_f16 v10, v11, v10
	v_bfi_b32 v11, s0, v19, v22
	v_pk_add_f16 v10, v11, v10
	v_pk_add_f16 v11, v94, v55
	v_pack_b32_f16 v77, v77, v77
	v_bfi_b32 v11, s0, v13, v11
	s_mov_b32 s1, 0xbb29b964
	v_pack_b32_f16 v78, v56, v56
	v_pack_b32_f16 v76, v76, v76
	v_pk_add_f16 v12, v11, v10
	s_mov_b32 s0, 0x372239e9
	v_pk_mul_f16 v10, v77, s1
	s_mov_b32 s1, 0xba62bbf7
	v_pack_b32_f16 v81, v57, v57
	v_pk_fma_f16 v10, v78, s0, v10
	s_mov_b32 s0, 0xb8d22de8
	v_pk_mul_f16 v11, v76, s1
	v_pack_b32_f16 v75, v75, v75
	v_pk_add_f16 v10, v80, v10
	v_pk_fma_f16 v11, v81, s0, v11
	s_mov_b32 s1, 0x31e1ba62
	v_pack_b32_f16 v83, v58, v58
	v_pk_add_f16 v10, v10, v11
	s_mov_b32 s0, 0xbbddb8d2
	v_pk_mul_f16 v11, v75, s1
	v_pack_b32_f16 v74, v74, v74
	v_pk_fma_f16 v11, v83, s0, v11
	s_mov_b32 s1, 0x3bb2b1e1
	v_pack_b32_f16 v85, v59, v59
	v_pk_add_f16 v10, v10, v11
	s_mov_b32 s0, 0xb461bbdd
	v_pk_mul_f16 v11, v74, s1
	v_pack_b32_f16 v73, v73, v73
	;; [unrolled: 7-line block ×5, first 2 shown]
	v_pk_fma_f16 v11, v91, s0, v11
	s_mov_b32 s1, 0xb83635c8
	v_pack_b32_f16 v93, v65, v65
	v_pk_add_f16 v10, v11, v10
	s_mov_b32 s0, 0xbacd3b76
	v_pk_mul_f16 v11, v70, s1
	v_pk_mul_f16 v95, v56, s15 op_sel_hi:[0,1]
	v_pk_fma_f16 v11, v93, s0, v11
	v_pk_mul_f16 v96, v57, s16 op_sel_hi:[0,1]
	v_pk_add_f16 v13, v11, v10
	v_add_f16_e32 v10, v95, v38
	v_pk_mul_f16 v97, v58, s17 op_sel_hi:[0,1]
	v_add_f16_sdwa v1, v1, v10 dst_sel:DWORD dst_unused:UNUSED_PAD src0_sel:WORD_1 src1_sel:DWORD
	v_add_f16_e32 v10, v96, v39
	v_pk_mul_f16 v98, v59, s18 op_sel_hi:[0,1]
	v_add_f16_e32 v1, v1, v10
	v_add_f16_e32 v10, v97, v40
	v_pk_mul_f16 v99, v61, s19 op_sel_hi:[0,1]
	v_add_f16_e32 v1, v1, v10
	;; [unrolled: 3-line block ×7, first 2 shown]
	v_pk_add_f16 v10, v56, v46
	v_pk_mul_f16 v58, v58, s4 op_sel_hi:[0,1]
	v_pk_add_f16 v10, v80, v10
	v_pk_add_f16 v11, v57, v47
	v_pk_mul_f16 v59, v59, s14 op_sel_hi:[0,1]
	v_pk_add_f16 v10, v10, v11
	;; [unrolled: 3-line block ×6, first 2 shown]
	v_pk_add_f16 v11, v64, v52
	s_mov_b32 s1, 0xb1e1b836
	v_pk_add_f16 v10, v11, v10
	v_pk_add_f16 v11, v65, v53
	s_mov_b32 s0, 0xbbddbacd
	v_pk_mul_f16 v14, v77, s1
	s_mov_b32 s4, 0x35c83b29
	v_pk_add_f16 v10, v11, v10
	v_pk_fma_f16 v11, v78, s0, v14
	s_mov_b32 s1, 0x3b763722
	v_pk_mul_f16 v15, v76, s4
	v_pk_add_f16 v11, v80, v11
	v_pk_fma_f16 v16, v81, s1, v15
	s_mov_b32 s5, 0xb836bbf7
	v_pk_add_f16 v11, v11, v16
	s_mov_b32 s4, 0xbacd2de8
	v_pk_mul_f16 v16, v75, s5
	v_pk_fma_f16 v17, v83, s4, v16
	s_mov_b32 s6, 0x39643a62
	v_pk_add_f16 v11, v11, v17
	s_mov_b32 s5, 0x39e9b8d2
	v_pk_mul_f16 v17, v74, s6
	v_pk_fma_f16 v18, v85, s5, v17
	s_mov_b32 s7, 0xba62b5c8
	v_pk_add_f16 v11, v11, v18
	s_mov_b32 s6, 0xb8d23b76
	v_pk_mul_f16 v18, v73, s7
	v_pk_fma_f16 v14, v78, s0, v14 neg_lo:[0,0,1] neg_hi:[0,0,1]
	v_pk_fma_f16 v19, v87, s6, v18
	s_mov_b32 s10, 0x3b29b1e1
	v_pk_add_f16 v14, v80, v14
	v_pk_fma_f16 v15, v81, s1, v15 neg_lo:[0,0,1] neg_hi:[0,0,1]
	v_pk_add_f16 v11, v11, v19
	s_mov_b32 s7, 0x3722bbdd
	v_pk_mul_f16 v19, v72, s10
	v_pk_add_f16 v14, v14, v15
	v_pk_fma_f16 v15, v83, s4, v16 neg_lo:[0,0,1] neg_hi:[0,0,1]
	v_pk_fma_f16 v20, v89, s7, v19
	s_mov_b32 s11, 0xbbb23964
	v_pk_add_f16 v14, v14, v15
	v_pk_fma_f16 v15, v85, s5, v17 neg_lo:[0,0,1] neg_hi:[0,0,1]
	v_pk_add_f16 v11, v20, v11
	s_mov_b32 s10, 0xb46139e9
	v_pk_mul_f16 v20, v71, s11
	v_pk_add_f16 v14, v14, v15
	;; [unrolled: 9-line block ×3, first 2 shown]
	v_pk_fma_f16 v15, v91, s10, v20 neg_lo:[0,0,1] neg_hi:[0,0,1]
	v_pk_add_f16 v14, v15, v14
	v_pk_fma_f16 v15, v93, s11, v21 neg_lo:[0,0,1] neg_hi:[0,0,1]
	v_pk_fma_f16 v22, v93, s11, v21
	v_pk_add_f16 v14, v15, v14
	v_lshl_add_u32 v15, v0, 5, v25
	v_pk_add_f16 v11, v22, v11
	ds_write_b64 v15, v[12:13]
	ds_write_b16 v15, v1 offset:8
	v_alignbit_b32 v12, v14, v14, 16
	v_alignbit_b32 v13, v9, v9, 16
	ds_write_b128 v15, v[10:13] offset:10
	ds_write_b64 v15, v[6:7] offset:26
.LBB0_15:
	s_or_b64 exec, exec, s[2:3]
	s_movk_i32 s0, 0xf1
	v_mul_lo_u16_sdwa v11, v0, s0 dst_sel:DWORD dst_unused:UNUSED_PAD src0_sel:BYTE_0 src1_sel:DWORD
	v_add_u32_e32 v10, 0xaa, v0
	v_lshrrev_b16_e32 v20, 12, v11
	s_mov_b32 s0, 0xf0f1
	v_mul_lo_u16_e32 v11, 17, v20
	v_mul_u32_u24_sdwa v23, v10, s0 dst_sel:DWORD dst_unused:UNUSED_PAD src0_sel:WORD_0 src1_sel:DWORD
	v_add_u32_e32 v1, 0x154, v0
	v_sub_u16_e32 v21, v0, v11
	v_mov_b32_e32 v22, 3
	v_lshrrev_b32_e32 v24, 20, v23
	v_mul_u32_u24_sdwa v11, v21, v22 dst_sel:DWORD dst_unused:UNUSED_PAD src0_sel:BYTE_0 src1_sel:DWORD
	v_mul_lo_u16_e32 v14, 17, v24
	v_mul_u32_u24_sdwa v39, v1, s0 dst_sel:DWORD dst_unused:UNUSED_PAD src0_sel:WORD_0 src1_sel:DWORD
	v_lshlrev_b32_e32 v11, 2, v11
	v_sub_u16_e32 v38, v10, v14
	v_lshrrev_b32_e32 v40, 20, v39
	s_waitcnt lgkmcnt(0)
	s_barrier
	global_load_dwordx3 v[11:13], v11, s[8:9]
	v_mul_u32_u24_e32 v14, 3, v38
	v_mul_lo_u16_e32 v17, 17, v40
	v_lshlrev_b32_e32 v14, 2, v14
	global_load_dwordx3 v[14:16], v14, s[8:9]
	v_sub_u16_e32 v41, v1, v17
	v_mul_u32_u24_e32 v17, 3, v41
	v_lshlrev_b32_e32 v17, 2, v17
	global_load_dwordx3 v[17:19], v17, s[8:9]
	ds_read_u16 v42, v25
	ds_read_u16 v43, v25 offset:340
	ds_read_u16 v44, v25 offset:1360
	;; [unrolled: 1-line block ×11, first 2 shown]
	v_mul_u32_u24_e32 v20, 0x88, v20
	s_waitcnt vmcnt(0) lgkmcnt(0)
	s_barrier
	s_movk_i32 s1, 0x79
	s_movk_i32 s4, 0x3aee
	s_mov_b32 s5, 0xbaee
	v_mul_f16_sdwa v54, v48, v11 dst_sel:DWORD dst_unused:UNUSED_PAD src0_sel:DWORD src1_sel:WORD_1
	v_mul_f16_sdwa v56, v46, v12 dst_sel:DWORD dst_unused:UNUSED_PAD src0_sel:DWORD src1_sel:WORD_1
	;; [unrolled: 1-line block ×6, first 2 shown]
	v_fma_f16 v36, v36, v11, -v54
	v_fma_f16 v35, v35, v12, -v56
	;; [unrolled: 1-line block ×3, first 2 shown]
	v_mul_f16_sdwa v60, v44, v14 dst_sel:DWORD dst_unused:UNUSED_PAD src0_sel:DWORD src1_sel:WORD_1
	v_mul_f16_sdwa v62, v45, v15 dst_sel:DWORD dst_unused:UNUSED_PAD src0_sel:DWORD src1_sel:WORD_1
	;; [unrolled: 1-line block ×4, first 2 shown]
	v_sub_f16_e32 v35, v28, v35
	v_sub_f16_e32 v37, v36, v37
	v_mul_f16_sdwa v61, v31, v14 dst_sel:DWORD dst_unused:UNUSED_PAD src0_sel:DWORD src1_sel:WORD_1
	v_mul_f16_sdwa v65, v33, v16 dst_sel:DWORD dst_unused:UNUSED_PAD src0_sel:DWORD src1_sel:WORD_1
	v_fma_f16 v11, v48, v11, v55
	v_fma_f16 v13, v52, v13, v59
	v_fma_f16 v31, v31, v14, -v60
	v_fma_f16 v29, v29, v15, -v62
	v_fma_f16 v15, v45, v15, v63
	v_fma_f16 v33, v33, v16, -v64
	v_fma_f16 v28, v28, 2.0, -v35
	v_fma_f16 v36, v36, 2.0, -v37
	v_mov_b32_e32 v45, 1
	v_mul_f16_sdwa v66, v47, v17 dst_sel:DWORD dst_unused:UNUSED_PAD src0_sel:DWORD src1_sel:WORD_1
	v_mul_f16_sdwa v68, v53, v18 dst_sel:DWORD dst_unused:UNUSED_PAD src0_sel:DWORD src1_sel:WORD_1
	;; [unrolled: 1-line block ×3, first 2 shown]
	v_sub_f16_e32 v13, v11, v13
	v_sub_f16_e32 v36, v28, v36
	;; [unrolled: 1-line block ×4, first 2 shown]
	v_lshlrev_b32_sdwa v21, v45, v21 dst_sel:DWORD dst_unused:UNUSED_PAD src0_sel:DWORD src1_sel:BYTE_0
	v_mul_f16_sdwa v67, v30, v17 dst_sel:DWORD dst_unused:UNUSED_PAD src0_sel:DWORD src1_sel:WORD_1
	v_mul_f16_sdwa v69, v34, v18 dst_sel:DWORD dst_unused:UNUSED_PAD src0_sel:DWORD src1_sel:WORD_1
	;; [unrolled: 1-line block ×3, first 2 shown]
	v_fma_f16 v12, v46, v12, v57
	v_fma_f16 v14, v44, v14, v61
	;; [unrolled: 1-line block ×3, first 2 shown]
	v_fma_f16 v30, v30, v17, -v66
	v_fma_f16 v34, v34, v18, -v68
	v_fma_f16 v32, v32, v19, -v70
	v_fma_f16 v11, v11, 2.0, -v13
	v_sub_f16_e32 v13, v35, v13
	v_fma_f16 v28, v28, 2.0, -v36
	v_fma_f16 v27, v27, 2.0, -v29
	;; [unrolled: 1-line block ×3, first 2 shown]
	v_add3_u32 v20, 0, v20, v21
	v_fma_f16 v17, v47, v17, v67
	v_fma_f16 v18, v53, v18, v69
	;; [unrolled: 1-line block ×3, first 2 shown]
	v_sub_f16_e32 v12, v42, v12
	v_fma_f16 v35, v35, 2.0, -v13
	v_sub_f16_e32 v16, v14, v16
	v_sub_f16_e32 v31, v27, v31
	;; [unrolled: 1-line block ×4, first 2 shown]
	ds_write_b16 v20, v28
	ds_write_b16 v20, v35 offset:34
	ds_write_b16 v20, v36 offset:68
	;; [unrolled: 1-line block ×3, first 2 shown]
	v_mul_u32_u24_e32 v13, 0x88, v24
	v_lshlrev_b32_e32 v21, 1, v38
	v_fma_f16 v42, v42, 2.0, -v12
	v_sub_f16_e32 v15, v43, v15
	v_fma_f16 v14, v14, 2.0, -v16
	v_fma_f16 v27, v27, 2.0, -v31
	v_sub_f16_e32 v16, v29, v16
	v_sub_f16_e32 v18, v49, v18
	v_fma_f16 v26, v26, 2.0, -v34
	v_sub_f16_e32 v19, v17, v19
	v_fma_f16 v30, v30, 2.0, -v32
	v_add3_u32 v13, 0, v13, v21
	v_sub_f16_e32 v11, v42, v11
	v_fma_f16 v43, v43, 2.0, -v15
	v_fma_f16 v29, v29, 2.0, -v16
	;; [unrolled: 1-line block ×4, first 2 shown]
	v_sub_f16_e32 v30, v26, v30
	v_sub_f16_e32 v19, v34, v19
	ds_write_b16 v13, v27
	ds_write_b16 v13, v29 offset:34
	ds_write_b16 v13, v31 offset:68
	;; [unrolled: 1-line block ×3, first 2 shown]
	v_mul_u32_u24_e32 v16, 0x88, v40
	v_lshlrev_b32_e32 v21, 1, v41
	v_add_f16_e32 v37, v12, v37
	v_fma_f16 v42, v42, 2.0, -v11
	v_sub_f16_e32 v14, v43, v14
	v_add_f16_e32 v33, v15, v33
	v_sub_f16_e32 v17, v44, v17
	v_fma_f16 v26, v26, 2.0, -v30
	v_add_f16_e32 v32, v18, v32
	v_fma_f16 v34, v34, 2.0, -v19
	v_add3_u32 v16, 0, v16, v21
	v_fma_f16 v12, v12, 2.0, -v37
	v_fma_f16 v43, v43, 2.0, -v14
	;; [unrolled: 1-line block ×5, first 2 shown]
	ds_write_b16 v16, v26
	ds_write_b16 v16, v34 offset:34
	ds_write_b16 v16, v30 offset:68
	;; [unrolled: 1-line block ×3, first 2 shown]
	s_waitcnt lgkmcnt(0)
	s_barrier
	ds_read_u16 v21, v25
	ds_read_u16 v28, v25 offset:340
	ds_read_u16 v29, v25 offset:680
	;; [unrolled: 1-line block ×11, first 2 shown]
	s_waitcnt lgkmcnt(0)
	s_barrier
	ds_write_b16 v20, v42
	ds_write_b16 v20, v12 offset:34
	ds_write_b16 v20, v11 offset:68
	ds_write_b16 v20, v37 offset:102
	ds_write_b16 v13, v43
	ds_write_b16 v13, v15 offset:34
	ds_write_b16 v13, v14 offset:68
	ds_write_b16 v13, v33 offset:102
	;; [unrolled: 4-line block ×3, first 2 shown]
	v_mul_lo_u16_sdwa v11, v0, s1 dst_sel:DWORD dst_unused:UNUSED_PAD src0_sel:BYTE_0 src1_sel:DWORD
	v_lshrrev_b16_e32 v16, 13, v11
	v_mul_lo_u16_e32 v11, 0x44, v16
	v_sub_u16_e32 v20, v0, v11
	v_lshrrev_b32_e32 v50, 22, v23
	v_lshlrev_b32_sdwa v11, v22, v20 dst_sel:DWORD dst_unused:UNUSED_PAD src0_sel:DWORD src1_sel:BYTE_0
	v_mul_lo_u16_e32 v13, 0x44, v50
	s_waitcnt lgkmcnt(0)
	s_barrier
	global_load_dwordx2 v[11:12], v11, s[8:9] offset:204
	v_sub_u16_e32 v22, v10, v13
	v_lshlrev_b32_e32 v13, 3, v22
	global_load_dwordx2 v[14:15], v13, s[8:9] offset:204
	v_lshrrev_b32_e32 v51, 22, v39
	v_mul_lo_u16_e32 v13, 0x44, v51
	v_sub_u16_e32 v1, v1, v13
	v_lshlrev_b32_e32 v13, 3, v1
	global_load_dwordx2 v[23:24], v13, s[8:9] offset:204
	v_add_u32_e32 v13, 0x1fe, v0
	v_mul_u32_u24_sdwa v17, v13, s0 dst_sel:DWORD dst_unused:UNUSED_PAD src0_sel:WORD_0 src1_sel:DWORD
	v_lshrrev_b32_e32 v52, 22, v17
	v_mul_lo_u16_e32 v17, 0x44, v52
	v_sub_u16_e32 v37, v13, v17
	v_lshlrev_b32_e32 v13, 3, v37
	global_load_dwordx2 v[26:27], v13, s[8:9] offset:204
	ds_read_u16 v19, v25
	ds_read_u16 v18, v25 offset:340
	ds_read_u16 v17, v25 offset:680
	;; [unrolled: 1-line block ×11, first 2 shown]
	v_lshlrev_b32_sdwa v54, v45, v20 dst_sel:DWORD dst_unused:UNUSED_PAD src0_sel:DWORD src1_sel:BYTE_0
	v_lshlrev_b32_e32 v55, 1, v22
	v_mul_u32_u24_e32 v16, 0x198, v16
	s_waitcnt vmcnt(0) lgkmcnt(0)
	s_barrier
	v_lshlrev_b32_e32 v1, 1, v1
	v_cmp_gt_u32_e64 s[0:1], 34, v0
	v_mul_f16_sdwa v20, v32, v11 dst_sel:DWORD dst_unused:UNUSED_PAD src0_sel:DWORD src1_sel:WORD_1
	v_mul_f16_sdwa v33, v34, v11 dst_sel:DWORD dst_unused:UNUSED_PAD src0_sel:DWORD src1_sel:WORD_1
	v_fma_f16 v20, v34, v11, -v20
	v_fma_f16 v32, v32, v11, v33
	v_mul_f16_sdwa v11, v38, v12 dst_sel:DWORD dst_unused:UNUSED_PAD src0_sel:DWORD src1_sel:WORD_1
	v_fma_f16 v33, v35, v12, -v11
	v_mul_f16_sdwa v11, v35, v12 dst_sel:DWORD dst_unused:UNUSED_PAD src0_sel:DWORD src1_sel:WORD_1
	v_fma_f16 v38, v38, v12, v11
	v_mul_f16_sdwa v11, v36, v14 dst_sel:DWORD dst_unused:UNUSED_PAD src0_sel:DWORD src1_sel:WORD_1
	v_fma_f16 v22, v30, v14, -v11
	v_mul_f16_sdwa v11, v30, v14 dst_sel:DWORD dst_unused:UNUSED_PAD src0_sel:DWORD src1_sel:WORD_1
	;; [unrolled: 4-line block ×5, first 2 shown]
	v_fma_f16 v44, v43, v24, v11
	v_mul_f16_sdwa v11, v42, v26 dst_sel:DWORD dst_unused:UNUSED_PAD src0_sel:DWORD src1_sel:WORD_1
	v_lshlrev_b32_e32 v14, 1, v37
	v_fma_f16 v37, v46, v26, -v11
	v_mul_f16_sdwa v11, v46, v26 dst_sel:DWORD dst_unused:UNUSED_PAD src0_sel:DWORD src1_sel:WORD_1
	v_fma_f16 v42, v42, v26, v11
	v_mul_f16_sdwa v11, v53, v27 dst_sel:DWORD dst_unused:UNUSED_PAD src0_sel:DWORD src1_sel:WORD_1
	v_fma_f16 v43, v49, v27, -v11
	v_mul_f16_sdwa v11, v49, v27 dst_sel:DWORD dst_unused:UNUSED_PAD src0_sel:DWORD src1_sel:WORD_1
	v_fma_f16 v45, v53, v27, v11
	v_add_f16_e32 v11, v21, v20
	v_add_f16_e32 v15, v11, v33
	v_add_f16_e32 v11, v20, v33
	v_fma_f16 v11, v11, -0.5, v21
	v_sub_f16_e32 v12, v32, v38
	v_fma_f16 v21, v12, s4, v11
	v_fma_f16 v23, v12, s5, v11
	v_add_f16_e32 v11, v28, v22
	v_add_f16_e32 v24, v11, v36
	v_add_f16_e32 v11, v22, v36
	v_fma_f16 v11, v11, -0.5, v28
	v_sub_f16_e32 v12, v35, v41
	v_fma_f16 v26, v12, s4, v11
	;; [unrolled: 7-line block ×4, first 2 shown]
	v_fma_f16 v12, v46, s5, v12
	v_add3_u32 v46, 0, v16, v54
	ds_write_b16 v46, v15
	ds_write_b16 v46, v21 offset:136
	ds_write_b16 v46, v23 offset:272
	v_mul_u32_u24_e32 v15, 0x198, v50
	v_add3_u32 v47, 0, v15, v55
	v_mul_u32_u24_e32 v15, 0x198, v51
	v_add3_u32 v48, 0, v15, v1
	;; [unrolled: 2-line block ×3, first 2 shown]
	ds_write_b16 v47, v24
	ds_write_b16 v47, v26 offset:136
	ds_write_b16 v47, v27 offset:272
	ds_write_b16 v48, v28
	ds_write_b16 v48, v29 offset:136
	ds_write_b16 v48, v30 offset:272
	;; [unrolled: 3-line block ×3, first 2 shown]
	s_waitcnt lgkmcnt(0)
	s_barrier
	ds_read_u16 v1, v25
	ds_read_u16 v21, v25 offset:408
	ds_read_u16 v24, v25 offset:816
	;; [unrolled: 1-line block ×9, first 2 shown]
                                        ; implicit-def: $vgpr14
                                        ; implicit-def: $vgpr15
                                        ; implicit-def: $vgpr16
	s_and_saveexec_b64 s[2:3], s[0:1]
	s_cbranch_execz .LBB0_17
; %bb.16:
	ds_read_u16 v11, v25 offset:340
	ds_read_u16 v12, v25 offset:748
	;; [unrolled: 1-line block ×10, first 2 shown]
	s_mov_b32 s6, 0x5040100
	s_waitcnt lgkmcnt(3)
	v_perm_b32 v5, v51, v5, s6
	v_perm_b32 v4, v50, v4, s6
.LBB0_17:
	s_or_b64 exec, exec, s[2:3]
	v_add_f16_e32 v50, v19, v32
	v_add_f16_e32 v32, v32, v38
	v_fma_f16 v19, v32, -0.5, v19
	v_sub_f16_e32 v20, v20, v33
	v_add_f16_e32 v33, v35, v41
	v_fma_f16 v32, v20, s5, v19
	v_fma_f16 v19, v20, s4, v19
	v_add_f16_e32 v20, v18, v35
	v_fma_f16 v18, v33, -0.5, v18
	v_sub_f16_e32 v22, v22, v36
	v_add_f16_e32 v35, v39, v44
	v_fma_f16 v33, v22, s5, v18
	v_fma_f16 v18, v22, s4, v18
	v_add_f16_e32 v22, v17, v39
	v_fma_f16 v17, v35, -0.5, v17
	v_sub_f16_e32 v34, v34, v40
	v_fma_f16 v35, v34, s5, v17
	v_fma_f16 v34, v34, s4, v17
	v_add_f16_e32 v17, v13, v42
	v_add_f16_e32 v36, v17, v45
	;; [unrolled: 1-line block ×5, first 2 shown]
	v_fma_f16 v17, v17, -0.5, v13
	v_sub_f16_e32 v37, v37, v43
	v_add_f16_e32 v20, v20, v41
	v_fma_f16 v13, v37, s5, v17
	v_fma_f16 v17, v37, s4, v17
	s_waitcnt lgkmcnt(0)
	s_barrier
	ds_write_b16 v46, v50
	ds_write_b16 v46, v32 offset:136
	ds_write_b16 v46, v19 offset:272
	ds_write_b16 v47, v20
	ds_write_b16 v47, v33 offset:136
	ds_write_b16 v47, v18 offset:272
	;; [unrolled: 3-line block ×4, first 2 shown]
	s_waitcnt lgkmcnt(0)
	s_barrier
	ds_read_u16 v22, v25
	ds_read_u16 v32, v25 offset:408
	ds_read_u16 v37, v25 offset:816
	;; [unrolled: 1-line block ×9, first 2 shown]
                                        ; implicit-def: $vgpr18
                                        ; implicit-def: $vgpr19
                                        ; implicit-def: $vgpr20
	s_and_saveexec_b64 s[2:3], s[0:1]
	s_cbranch_execz .LBB0_19
; %bb.18:
	ds_read_u16 v13, v25 offset:340
	ds_read_u16 v17, v25 offset:748
	;; [unrolled: 1-line block ×10, first 2 shown]
	s_mov_b32 s4, 0x5040100
	s_waitcnt lgkmcnt(3)
	v_perm_b32 v7, v42, v7, s4
	v_perm_b32 v6, v41, v6, s4
.LBB0_19:
	s_or_b64 exec, exec, s[2:3]
	s_and_saveexec_b64 s[2:3], vcc
	s_cbranch_execz .LBB0_22
; %bb.20:
	v_mul_u32_u24_e32 v25, 9, v0
	v_lshlrev_b32_e32 v25, 2, v25
	global_load_dwordx4 v[41:44], v25, s[8:9] offset:748
	global_load_dwordx4 v[45:48], v25, s[8:9] offset:764
	global_load_dword v49, v25, s[8:9] offset:780
	s_movk_i32 s4, 0x3b9c
	s_mov_b32 s5, 0xbb9c
	s_movk_i32 s3, 0x38b4
	s_mov_b32 s6, 0xb8b4
	s_movk_i32 s2, 0x34f2
	s_movk_i32 s7, 0x3a79
	s_waitcnt vmcnt(2)
	v_mul_f16_sdwa v25, v24, v42 dst_sel:DWORD dst_unused:UNUSED_PAD src0_sel:DWORD src1_sel:WORD_1
	v_mul_f16_sdwa v50, v29, v44 dst_sel:DWORD dst_unused:UNUSED_PAD src0_sel:DWORD src1_sel:WORD_1
	s_waitcnt vmcnt(1)
	v_mul_f16_sdwa v51, v31, v48 dst_sel:DWORD dst_unused:UNUSED_PAD src0_sel:DWORD src1_sel:WORD_1
	v_mul_f16_sdwa v52, v30, v46 dst_sel:DWORD dst_unused:UNUSED_PAD src0_sel:DWORD src1_sel:WORD_1
	s_waitcnt lgkmcnt(5)
	v_mul_f16_sdwa v53, v38, v44 dst_sel:DWORD dst_unused:UNUSED_PAD src0_sel:DWORD src1_sel:WORD_1
	s_waitcnt lgkmcnt(3)
	v_mul_f16_sdwa v54, v39, v46 dst_sel:DWORD dst_unused:UNUSED_PAD src0_sel:DWORD src1_sel:WORD_1
	v_mul_f16_sdwa v55, v37, v42 dst_sel:DWORD dst_unused:UNUSED_PAD src0_sel:DWORD src1_sel:WORD_1
	s_waitcnt lgkmcnt(1)
	v_mul_f16_sdwa v56, v40, v48 dst_sel:DWORD dst_unused:UNUSED_PAD src0_sel:DWORD src1_sel:WORD_1
	v_mul_f16_sdwa v57, v33, v43 dst_sel:DWORD dst_unused:UNUSED_PAD src0_sel:DWORD src1_sel:WORD_1
	;; [unrolled: 1-line block ×3, first 2 shown]
	s_waitcnt vmcnt(0) lgkmcnt(0)
	v_mul_f16_sdwa v59, v36, v49 dst_sel:DWORD dst_unused:UNUSED_PAD src0_sel:DWORD src1_sel:WORD_1
	v_mul_f16_sdwa v60, v35, v47 dst_sel:DWORD dst_unused:UNUSED_PAD src0_sel:DWORD src1_sel:WORD_1
	;; [unrolled: 1-line block ×8, first 2 shown]
	v_fma_f16 v25, v37, v42, v25
	v_fma_f16 v37, v38, v44, v50
	;; [unrolled: 1-line block ×4, first 2 shown]
	v_fma_f16 v29, v29, v44, -v53
	v_fma_f16 v24, v24, v42, -v55
	;; [unrolled: 1-line block ×8, first 2 shown]
	v_fma_f16 v33, v33, v43, v62
	v_fma_f16 v36, v36, v49, v63
	;; [unrolled: 1-line block ×5, first 2 shown]
	v_sub_f16_e32 v40, v25, v37
	v_sub_f16_e32 v41, v38, v39
	v_add_f16_e32 v44, v37, v39
	v_fma_f16 v30, v30, v46, -v54
	v_sub_f16_e32 v43, v24, v31
	v_sub_f16_e32 v45, v23, v26
	;; [unrolled: 1-line block ×7, first 2 shown]
	v_add_f16_e32 v40, v40, v41
	v_fma_f16 v41, v44, -0.5, v22
	v_sub_f16_e32 v42, v29, v30
	v_add_f16_e32 v47, v26, v27
	v_add_f16_e32 v54, v34, v35
	;; [unrolled: 1-line block ×5, first 2 shown]
	v_fma_f16 v55, v43, s4, v41
	v_fma_f16 v41, v43, s5, v41
	v_sub_f16_e32 v53, v23, v28
	v_add_f16_e32 v57, v25, v38
	v_fma_f16 v45, v47, -0.5, v21
	v_fma_f16 v47, v54, -0.5, v32
	v_fma_f16 v55, v42, s3, v55
	v_sub_f16_e32 v63, v34, v33
	v_sub_f16_e32 v64, v35, v36
	v_fma_f16 v41, v42, s6, v41
	v_sub_f16_e32 v52, v26, v27
	v_fma_f16 v51, v57, -0.5, v22
	v_fma_f16 v57, v53, s4, v47
	v_fma_f16 v55, v40, s2, v55
	v_add_f16_e32 v63, v63, v64
	v_add_f16_e32 v64, v33, v36
	v_fma_f16 v40, v40, s2, v41
	v_fma_f16 v41, v53, s5, v47
	v_sub_f16_e32 v48, v33, v36
	v_sub_f16_e32 v58, v26, v23
	;; [unrolled: 1-line block ×3, first 2 shown]
	v_fma_f16 v57, v52, s3, v57
	v_fma_f16 v64, v64, -0.5, v32
	v_fma_f16 v41, v52, s6, v41
	v_add_f16_e32 v32, v33, v32
	v_add_f16_e32 v54, v58, v59
	v_fma_f16 v56, v48, s5, v45
	v_fma_f16 v58, v42, s5, v51
	;; [unrolled: 1-line block ×6, first 2 shown]
	v_add_f16_e32 v32, v34, v32
	v_sub_f16_e32 v45, v29, v24
	v_sub_f16_e32 v46, v30, v31
	;; [unrolled: 1-line block ×3, first 2 shown]
	v_add_f16_e32 v22, v22, v25
	v_add_f16_e32 v32, v35, v32
	v_sub_f16_e32 v34, v24, v29
	v_sub_f16_e32 v35, v31, v30
	v_add_f16_e32 v45, v45, v46
	v_add_f16_e32 v46, v24, v31
	;; [unrolled: 1-line block ×5, first 2 shown]
	v_sub_f16_e32 v37, v37, v39
	v_fma_f16 v46, v46, -0.5, v1
	v_add_f16_e32 v60, v23, v28
	v_fma_f16 v35, v35, -0.5, v1
	v_sub_f16_e32 v25, v25, v38
	v_fma_f16 v47, v37, s4, v46
	v_fma_f16 v46, v37, s5, v46
	v_fma_f16 v60, v60, -0.5, v21
	v_add_f16_e32 v32, v36, v32
	v_fma_f16 v36, v25, s5, v35
	v_fma_f16 v47, v25, s6, v47
	;; [unrolled: 1-line block ×4, first 2 shown]
	v_add_f16_e32 v1, v1, v24
	v_add_f16_e32 v21, v23, v21
	v_fma_f16 v42, v49, s3, v42
	v_fma_f16 v36, v37, s6, v36
	;; [unrolled: 1-line block ×3, first 2 shown]
	v_add_f16_e32 v1, v1, v29
	v_add_f16_e32 v21, v26, v21
	v_fma_f16 v42, v44, s2, v42
	v_add_f16_e32 v22, v22, v39
	v_fma_f16 v36, v34, s2, v36
	v_fma_f16 v25, v34, s2, v25
	v_mul_f16_e32 v34, 0x38b4, v41
	v_add_f16_e32 v1, v1, v30
	v_add_f16_e32 v21, v27, v21
	v_fma_f16 v58, v43, s3, v58
	v_fma_f16 v51, v43, s6, v51
	v_add_f16_e32 v22, v38, v22
	v_fma_f16 v34, v42, s7, v34
	v_add_f16_e32 v1, v31, v1
	v_add_f16_e32 v21, v28, v21
	v_fma_f16 v58, v50, s2, v58
	v_fma_f16 v62, v49, s4, v60
	;; [unrolled: 1-line block ×5, first 2 shown]
	v_sub_f16_e32 v33, v22, v32
	v_sub_f16_e32 v35, v25, v34
	;; [unrolled: 1-line block ×3, first 2 shown]
	v_add_f16_e32 v22, v22, v32
	v_add_f16_e32 v25, v25, v34
	;; [unrolled: 1-line block ×3, first 2 shown]
	v_mov_b32_e32 v1, 0
	v_mov_b32_e32 v32, s13
	v_add_co_u32_e32 v34, vcc, s12, v2
	v_fma_f16 v62, v48, s6, v62
	v_fma_f16 v65, v52, s5, v64
	;; [unrolled: 1-line block ×4, first 2 shown]
	v_addc_co_u32_e32 v32, vcc, v32, v3, vcc
	v_lshlrev_b64 v[2:3], 2, v[0:1]
	v_fma_f16 v62, v54, s2, v62
	v_fma_f16 v65, v53, s3, v65
	;; [unrolled: 1-line block ×4, first 2 shown]
	v_mul_f16_e32 v43, 0xb8b4, v42
	v_fma_f16 v56, v49, s6, v56
	v_fma_f16 v65, v63, s2, v65
	v_mul_f16_e32 v60, 0xbb9c, v54
	v_fma_f16 v43, v41, s7, v43
	v_fma_f16 v47, v45, s2, v47
	;; [unrolled: 1-line block ×3, first 2 shown]
	v_mul_f16_e32 v46, 0x3b9c, v51
	v_add_co_u32_e32 v2, vcc, v34, v2
	v_fma_f16 v56, v44, s2, v56
	v_mul_f16_e32 v66, 0x34f2, v65
	v_fma_f16 v60, v51, s2, v60
	v_mul_f16_e32 v48, 0x34f2, v62
	v_fma_f16 v46, v54, s2, v46
	v_add_f16_e32 v28, v40, v43
	v_addc_co_u32_e32 v3, vcc, v32, v3, vcc
	v_pack_b32_f16 v21, v21, v22
	v_mul_f16_e32 v59, 0x3a79, v57
	v_fma_f16 v66, v62, s5, -v66
	v_mul_f16_e32 v38, 0x3a79, v56
	v_fma_f16 v48, v65, s4, -v48
	v_add_f16_e32 v27, v50, v60
	v_add_f16_e32 v31, v45, v46
	global_store_dword v[2:3], v21, off
	v_pack_b32_f16 v21, v25, v28
	v_fma_f16 v59, v56, s6, -v59
	v_fma_f16 v38, v57, s3, -v38
	v_add_f16_e32 v26, v58, v66
	v_add_f16_e32 v30, v47, v48
	global_store_dword v[2:3], v21, off offset:816
	v_pack_b32_f16 v21, v31, v27
	v_add_f16_e32 v24, v55, v59
	v_add_f16_e32 v29, v36, v38
	global_store_dword v[2:3], v21, off offset:1632
	v_pack_b32_f16 v21, v30, v26
	global_store_dword v[2:3], v21, off offset:2448
	v_pack_b32_f16 v21, v29, v24
	;; [unrolled: 2-line block ×3, first 2 shown]
	v_sub_f16_e32 v44, v40, v43
	global_store_dword v[2:3], v21, off offset:4080
	v_add_co_u32_e32 v21, vcc, 0x1000, v2
	v_sub_f16_e32 v63, v50, v60
	v_sub_f16_e32 v51, v45, v46
	v_pack_b32_f16 v23, v35, v44
	v_addc_co_u32_e32 v22, vcc, 0, v3, vcc
	v_sub_f16_e32 v67, v58, v66
	v_sub_f16_e32 v49, v47, v48
	global_store_dword v[21:22], v23, off offset:800
	v_pack_b32_f16 v23, v51, v63
	v_sub_f16_e32 v61, v55, v59
	v_sub_f16_e32 v39, v36, v38
	global_store_dword v[21:22], v23, off offset:1616
	v_pack_b32_f16 v23, v49, v67
	global_store_dword v[21:22], v23, off offset:2432
	v_pack_b32_f16 v23, v39, v61
	global_store_dword v[21:22], v23, off offset:3248
	s_and_b64 exec, exec, s[0:1]
	s_cbranch_execz .LBB0_22
; %bb.21:
	v_subrev_u32_e32 v0, 34, v0
	v_cndmask_b32_e64 v0, v0, v10, s[0:1]
	v_mul_i32_i24_e32 v0, 9, v0
	v_lshlrev_b64 v[0:1], 2, v[0:1]
	v_mov_b32_e32 v10, s9
	v_add_co_u32_e32 v0, vcc, s8, v0
	v_addc_co_u32_e32 v1, vcc, v10, v1, vcc
	global_load_dwordx4 v[21:24], v[0:1], off offset:748
	global_load_dwordx4 v[25:28], v[0:1], off offset:764
	global_load_dword v10, v[0:1], off offset:780
	v_lshrrev_b32_e32 v1, 16, v6
	v_lshrrev_b32_e32 v30, 16, v7
	;; [unrolled: 1-line block ×4, first 2 shown]
	s_waitcnt vmcnt(2)
	v_mul_f16_sdwa v31, v17, v21 dst_sel:DWORD dst_unused:UNUSED_PAD src0_sel:DWORD src1_sel:WORD_1
	v_mul_f16_sdwa v32, v12, v21 dst_sel:DWORD dst_unused:UNUSED_PAD src0_sel:DWORD src1_sel:WORD_1
	v_mul_f16_sdwa v33, v9, v22 dst_sel:DWORD dst_unused:UNUSED_PAD src0_sel:DWORD src1_sel:WORD_1
	v_mul_f16_sdwa v37, v1, v24 dst_sel:DWORD dst_unused:UNUSED_PAD src0_sel:DWORD src1_sel:WORD_1
	s_waitcnt vmcnt(1)
	v_mul_f16_sdwa v41, v30, v26 dst_sel:DWORD dst_unused:UNUSED_PAD src0_sel:DWORD src1_sel:WORD_1
	v_mul_f16_sdwa v45, v19, v28 dst_sel:DWORD dst_unused:UNUSED_PAD src0_sel:DWORD src1_sel:WORD_1
	;; [unrolled: 1-line block ×8, first 2 shown]
	s_waitcnt vmcnt(0)
	v_mul_f16_sdwa v47, v18, v10 dst_sel:DWORD dst_unused:UNUSED_PAD src0_sel:DWORD src1_sel:WORD_1
	v_mul_f16_sdwa v48, v14, v10 dst_sel:DWORD dst_unused:UNUSED_PAD src0_sel:DWORD src1_sel:WORD_1
	v_fma_f16 v12, v12, v21, -v31
	v_fma_f16 v17, v17, v21, v32
	v_fma_f16 v8, v8, v22, -v33
	v_fma_f16 v0, v0, v24, -v37
	;; [unrolled: 1-line block ×4, first 2 shown]
	v_mul_f16_sdwa v39, v7, v25 dst_sel:DWORD dst_unused:UNUSED_PAD src0_sel:DWORD src1_sel:WORD_1
	v_mul_f16_sdwa v40, v5, v25 dst_sel:DWORD dst_unused:UNUSED_PAD src0_sel:DWORD src1_sel:WORD_1
	;; [unrolled: 1-line block ×4, first 2 shown]
	v_fma_f16 v9, v9, v22, v34
	v_fma_f16 v4, v4, v23, -v35
	v_fma_f16 v6, v6, v23, v36
	v_fma_f16 v1, v1, v24, v38
	;; [unrolled: 1-line block ×4, first 2 shown]
	v_fma_f16 v14, v14, v10, -v47
	v_fma_f16 v10, v18, v10, v48
	v_add_f16_e32 v18, v11, v8
	v_add_f16_e32 v23, v0, v21
	;; [unrolled: 1-line block ×3, first 2 shown]
	v_fma_f16 v5, v5, v25, -v39
	v_fma_f16 v7, v7, v25, v40
	v_fma_f16 v16, v16, v27, -v43
	v_fma_f16 v20, v20, v27, v44
	v_sub_f16_e32 v24, v9, v19
	v_sub_f16_e32 v25, v1, v22
	;; [unrolled: 1-line block ×7, first 2 shown]
	v_add_f16_e32 v0, v18, v0
	v_fma_f16 v18, v23, -0.5, v11
	v_fma_f16 v11, v28, -0.5, v11
	v_add_f16_e32 v23, v26, v27
	v_add_f16_e32 v26, v29, v30
	;; [unrolled: 1-line block ×3, first 2 shown]
	v_fma_f16 v21, v24, s4, v18
	v_fma_f16 v30, v25, s5, v11
	;; [unrolled: 1-line block ×3, first 2 shown]
	v_add_f16_e32 v32, v1, v22
	v_sub_f16_e32 v8, v8, v15
	v_add_f16_e32 v0, v0, v15
	v_fma_f16 v15, v25, s3, v21
	v_fma_f16 v21, v24, s3, v30
	;; [unrolled: 1-line block ×3, first 2 shown]
	v_add_f16_e32 v31, v13, v9
	v_fma_f16 v28, v32, -0.5, v13
	v_fma_f16 v21, v26, s2, v21
	v_fma_f16 v11, v26, s2, v11
	v_add_f16_e32 v26, v9, v19
	v_sub_f16_e32 v34, v9, v1
	v_sub_f16_e32 v35, v19, v22
	v_add_f16_e32 v27, v31, v1
	v_fma_f16 v18, v24, s5, v18
	v_fma_f16 v31, v8, s5, v28
	v_fma_f16 v13, v26, -0.5, v13
	v_add_f16_e32 v29, v34, v35
	v_fma_f16 v18, v25, s6, v18
	v_fma_f16 v25, v33, s6, v31
	;; [unrolled: 1-line block ×4, first 2 shown]
	v_add_f16_e32 v27, v27, v22
	v_fma_f16 v15, v23, s2, v15
	v_fma_f16 v18, v23, s2, v18
	;; [unrolled: 1-line block ×5, first 2 shown]
	v_sub_f16_e32 v1, v1, v9
	v_sub_f16_e32 v9, v22, v19
	v_fma_f16 v8, v8, s3, v13
	v_add_f16_e32 v13, v5, v16
	v_add_f16_e32 v24, v27, v19
	;; [unrolled: 1-line block ×3, first 2 shown]
	v_fma_f16 v13, v13, -0.5, v12
	v_sub_f16_e32 v19, v6, v10
	v_fma_f16 v9, v1, s2, v26
	v_fma_f16 v22, v19, s4, v13
	v_sub_f16_e32 v26, v7, v20
	v_sub_f16_e32 v27, v4, v5
	v_sub_f16_e32 v28, v14, v16
	v_fma_f16 v13, v19, s5, v13
	v_fma_f16 v22, v26, s3, v22
	v_add_f16_e32 v27, v27, v28
	v_fma_f16 v13, v26, s6, v13
	v_fma_f16 v22, v27, s2, v22
	;; [unrolled: 1-line block ×3, first 2 shown]
	v_add_f16_e32 v27, v4, v14
	v_fma_f16 v25, v33, s3, v25
	v_fma_f16 v1, v1, s2, v8
	v_add_f16_e32 v8, v12, v4
	v_fma_f16 v12, v27, -0.5, v12
	v_fma_f16 v25, v29, s2, v25
	v_add_f16_e32 v8, v8, v5
	v_fma_f16 v27, v26, s5, v12
	v_sub_f16_e32 v28, v5, v4
	v_sub_f16_e32 v29, v16, v14
	v_fma_f16 v12, v26, s4, v12
	v_add_f16_e32 v26, v7, v20
	v_add_f16_e32 v8, v8, v16
	v_fma_f16 v27, v19, s3, v27
	v_add_f16_e32 v28, v28, v29
	v_fma_f16 v12, v19, s6, v12
	v_fma_f16 v26, v26, -0.5, v17
	v_sub_f16_e32 v4, v4, v14
	v_add_f16_e32 v8, v8, v14
	v_fma_f16 v27, v28, s2, v27
	v_fma_f16 v12, v28, s2, v12
	;; [unrolled: 1-line block ×3, first 2 shown]
	v_sub_f16_e32 v5, v5, v16
	v_sub_f16_e32 v16, v6, v7
	;; [unrolled: 1-line block ×3, first 2 shown]
	v_fma_f16 v26, v4, s4, v26
	v_fma_f16 v14, v5, s6, v14
	v_add_f16_e32 v16, v16, v28
	v_fma_f16 v26, v5, s3, v26
	v_fma_f16 v14, v16, s2, v14
	;; [unrolled: 1-line block ×3, first 2 shown]
	v_add_f16_e32 v26, v6, v10
	v_add_f16_e32 v19, v17, v6
	v_fma_f16 v17, v26, -0.5, v17
	v_add_f16_e32 v19, v19, v7
	v_fma_f16 v26, v5, s4, v17
	v_sub_f16_e32 v6, v7, v6
	v_sub_f16_e32 v7, v20, v10
	v_fma_f16 v5, v5, s5, v17
	v_fma_f16 v26, v4, s6, v26
	v_add_f16_e32 v6, v6, v7
	v_fma_f16 v4, v4, s3, v5
	v_add_f16_e32 v19, v19, v20
	v_fma_f16 v7, v6, s2, v26
	v_fma_f16 v4, v6, s2, v4
	v_mul_f16_e32 v6, 0x38b4, v14
	v_mul_f16_e32 v26, 0x34f2, v12
	v_add_f16_e32 v19, v19, v10
	v_fma_f16 v6, v22, s7, v6
	v_mul_f16_e32 v17, 0x3b9c, v7
	v_fma_f16 v26, v4, s4, -v26
	v_mul_f16_e32 v22, 0xb8b4, v22
	v_mul_f16_e32 v4, 0x34f2, v4
	v_add_f16_e32 v5, v0, v8
	v_fma_f16 v17, v27, s2, v17
	v_add_f16_e32 v31, v24, v19
	v_fma_f16 v14, v14, s7, v22
	v_mul_f16_e32 v27, 0xbb9c, v27
	v_fma_f16 v4, v12, s5, -v4
	v_add_f16_e32 v10, v15, v6
	v_mul_f16_e32 v29, 0x3a79, v13
	v_add_f16_e32 v22, v23, v14
	v_fma_f16 v7, v7, s2, v27
	v_add_f16_e32 v12, v1, v4
	v_sub_f16_e32 v4, v1, v4
	v_pack_b32_f16 v1, v5, v31
	v_add_f16_e32 v20, v21, v17
	v_fma_f16 v29, v16, s3, -v29
	v_add_f16_e32 v27, v9, v7
	v_mul_f16_e32 v16, 0x3a79, v16
	global_store_dword v[2:3], v1, off offset:680
	v_pack_b32_f16 v1, v10, v22
	v_add_f16_e32 v28, v11, v26
	v_fma_f16 v13, v13, s6, -v16
	global_store_dword v[2:3], v1, off offset:1496
	v_pack_b32_f16 v1, v20, v27
	v_add_f16_e32 v30, v18, v29
	v_add_f16_e32 v16, v25, v13
	v_sub_f16_e32 v0, v0, v8
	v_sub_f16_e32 v8, v21, v17
	;; [unrolled: 1-line block ×3, first 2 shown]
	global_store_dword v[2:3], v1, off offset:2312
	v_pack_b32_f16 v1, v28, v12
	v_sub_f16_e32 v6, v15, v6
	v_sub_f16_e32 v14, v23, v14
	global_store_dword v[2:3], v1, off offset:3128
	v_pack_b32_f16 v1, v30, v16
	v_pack_b32_f16 v5, v0, v17
	v_add_co_u32_e32 v0, vcc, 0x1000, v2
	v_sub_f16_e32 v7, v9, v7
	global_store_dword v[2:3], v1, off offset:3944
	v_addc_co_u32_e32 v1, vcc, 0, v3, vcc
	v_pack_b32_f16 v2, v6, v14
	v_sub_f16_e32 v11, v11, v26
	global_store_dword v[0:1], v2, off offset:1480
	v_pack_b32_f16 v2, v8, v7
	v_sub_f16_e32 v15, v18, v29
	v_sub_f16_e32 v9, v25, v13
	global_store_dword v[0:1], v2, off offset:2296
	v_pack_b32_f16 v2, v11, v4
	global_store_dword v[0:1], v2, off offset:3112
	v_pack_b32_f16 v2, v15, v9
	global_store_dword v[0:1], v5, off offset:664
	global_store_dword v[0:1], v2, off offset:3928
.LBB0_22:
	s_endpgm
	.section	.rodata,"a",@progbits
	.p2align	6, 0x0
	.amdhsa_kernel fft_rtc_fwd_len2040_factors_17_4_3_10_wgs_170_tpt_170_halfLds_half_ip_CI_unitstride_sbrr_dirReg
		.amdhsa_group_segment_fixed_size 0
		.amdhsa_private_segment_fixed_size 0
		.amdhsa_kernarg_size 88
		.amdhsa_user_sgpr_count 6
		.amdhsa_user_sgpr_private_segment_buffer 1
		.amdhsa_user_sgpr_dispatch_ptr 0
		.amdhsa_user_sgpr_queue_ptr 0
		.amdhsa_user_sgpr_kernarg_segment_ptr 1
		.amdhsa_user_sgpr_dispatch_id 0
		.amdhsa_user_sgpr_flat_scratch_init 0
		.amdhsa_user_sgpr_private_segment_size 0
		.amdhsa_uses_dynamic_stack 0
		.amdhsa_system_sgpr_private_segment_wavefront_offset 0
		.amdhsa_system_sgpr_workgroup_id_x 1
		.amdhsa_system_sgpr_workgroup_id_y 0
		.amdhsa_system_sgpr_workgroup_id_z 0
		.amdhsa_system_sgpr_workgroup_info 0
		.amdhsa_system_vgpr_workitem_id 0
		.amdhsa_next_free_vgpr 114
		.amdhsa_next_free_sgpr 50
		.amdhsa_reserve_vcc 1
		.amdhsa_reserve_flat_scratch 0
		.amdhsa_float_round_mode_32 0
		.amdhsa_float_round_mode_16_64 0
		.amdhsa_float_denorm_mode_32 3
		.amdhsa_float_denorm_mode_16_64 3
		.amdhsa_dx10_clamp 1
		.amdhsa_ieee_mode 1
		.amdhsa_fp16_overflow 0
		.amdhsa_exception_fp_ieee_invalid_op 0
		.amdhsa_exception_fp_denorm_src 0
		.amdhsa_exception_fp_ieee_div_zero 0
		.amdhsa_exception_fp_ieee_overflow 0
		.amdhsa_exception_fp_ieee_underflow 0
		.amdhsa_exception_fp_ieee_inexact 0
		.amdhsa_exception_int_div_zero 0
	.end_amdhsa_kernel
	.text
.Lfunc_end0:
	.size	fft_rtc_fwd_len2040_factors_17_4_3_10_wgs_170_tpt_170_halfLds_half_ip_CI_unitstride_sbrr_dirReg, .Lfunc_end0-fft_rtc_fwd_len2040_factors_17_4_3_10_wgs_170_tpt_170_halfLds_half_ip_CI_unitstride_sbrr_dirReg
                                        ; -- End function
	.section	.AMDGPU.csdata,"",@progbits
; Kernel info:
; codeLenInByte = 12340
; NumSgprs: 54
; NumVgprs: 114
; ScratchSize: 0
; MemoryBound: 0
; FloatMode: 240
; IeeeMode: 1
; LDSByteSize: 0 bytes/workgroup (compile time only)
; SGPRBlocks: 6
; VGPRBlocks: 28
; NumSGPRsForWavesPerEU: 54
; NumVGPRsForWavesPerEU: 114
; Occupancy: 2
; WaveLimiterHint : 1
; COMPUTE_PGM_RSRC2:SCRATCH_EN: 0
; COMPUTE_PGM_RSRC2:USER_SGPR: 6
; COMPUTE_PGM_RSRC2:TRAP_HANDLER: 0
; COMPUTE_PGM_RSRC2:TGID_X_EN: 1
; COMPUTE_PGM_RSRC2:TGID_Y_EN: 0
; COMPUTE_PGM_RSRC2:TGID_Z_EN: 0
; COMPUTE_PGM_RSRC2:TIDIG_COMP_CNT: 0
	.type	__hip_cuid_8e76fdf63cb030c6,@object ; @__hip_cuid_8e76fdf63cb030c6
	.section	.bss,"aw",@nobits
	.globl	__hip_cuid_8e76fdf63cb030c6
__hip_cuid_8e76fdf63cb030c6:
	.byte	0                               ; 0x0
	.size	__hip_cuid_8e76fdf63cb030c6, 1

	.ident	"AMD clang version 19.0.0git (https://github.com/RadeonOpenCompute/llvm-project roc-6.4.0 25133 c7fe45cf4b819c5991fe208aaa96edf142730f1d)"
	.section	".note.GNU-stack","",@progbits
	.addrsig
	.addrsig_sym __hip_cuid_8e76fdf63cb030c6
	.amdgpu_metadata
---
amdhsa.kernels:
  - .args:
      - .actual_access:  read_only
        .address_space:  global
        .offset:         0
        .size:           8
        .value_kind:     global_buffer
      - .offset:         8
        .size:           8
        .value_kind:     by_value
      - .actual_access:  read_only
        .address_space:  global
        .offset:         16
        .size:           8
        .value_kind:     global_buffer
      - .actual_access:  read_only
        .address_space:  global
        .offset:         24
        .size:           8
        .value_kind:     global_buffer
      - .offset:         32
        .size:           8
        .value_kind:     by_value
      - .actual_access:  read_only
        .address_space:  global
        .offset:         40
        .size:           8
        .value_kind:     global_buffer
      - .actual_access:  read_only
        .address_space:  global
        .offset:         48
        .size:           8
        .value_kind:     global_buffer
      - .offset:         56
        .size:           4
        .value_kind:     by_value
      - .actual_access:  read_only
        .address_space:  global
        .offset:         64
        .size:           8
        .value_kind:     global_buffer
      - .actual_access:  read_only
        .address_space:  global
        .offset:         72
        .size:           8
        .value_kind:     global_buffer
      - .address_space:  global
        .offset:         80
        .size:           8
        .value_kind:     global_buffer
    .group_segment_fixed_size: 0
    .kernarg_segment_align: 8
    .kernarg_segment_size: 88
    .language:       OpenCL C
    .language_version:
      - 2
      - 0
    .max_flat_workgroup_size: 170
    .name:           fft_rtc_fwd_len2040_factors_17_4_3_10_wgs_170_tpt_170_halfLds_half_ip_CI_unitstride_sbrr_dirReg
    .private_segment_fixed_size: 0
    .sgpr_count:     54
    .sgpr_spill_count: 0
    .symbol:         fft_rtc_fwd_len2040_factors_17_4_3_10_wgs_170_tpt_170_halfLds_half_ip_CI_unitstride_sbrr_dirReg.kd
    .uniform_work_group_size: 1
    .uses_dynamic_stack: false
    .vgpr_count:     114
    .vgpr_spill_count: 0
    .wavefront_size: 64
amdhsa.target:   amdgcn-amd-amdhsa--gfx906
amdhsa.version:
  - 1
  - 2
...

	.end_amdgpu_metadata
